;; amdgpu-corpus repo=ROCm/rocFFT kind=compiled arch=gfx1100 opt=O3
	.text
	.amdgcn_target "amdgcn-amd-amdhsa--gfx1100"
	.amdhsa_code_object_version 6
	.protected	bluestein_single_fwd_len1573_dim1_dp_op_CI_CI ; -- Begin function bluestein_single_fwd_len1573_dim1_dp_op_CI_CI
	.globl	bluestein_single_fwd_len1573_dim1_dp_op_CI_CI
	.p2align	8
	.type	bluestein_single_fwd_len1573_dim1_dp_op_CI_CI,@function
bluestein_single_fwd_len1573_dim1_dp_op_CI_CI: ; @bluestein_single_fwd_len1573_dim1_dp_op_CI_CI
; %bb.0:
	s_load_b128 s[4:7], s[0:1], 0x28
	v_mul_u32_u24_e32 v1, 0x1cb, v0
	s_mov_b32 s2, exec_lo
	v_mov_b32_e32 v133, 0
	s_delay_alu instid0(VALU_DEP_2) | instskip(NEXT) | instid1(VALU_DEP_1)
	v_lshrrev_b32_e32 v1, 16, v1
	v_add_nc_u32_e32 v132, s15, v1
	s_waitcnt lgkmcnt(0)
	s_delay_alu instid0(VALU_DEP_1)
	v_cmpx_gt_u64_e64 s[4:5], v[132:133]
	s_cbranch_execz .LBB0_15
; %bb.1:
	s_clause 0x1
	s_load_b64 s[14:15], s[0:1], 0x0
	s_load_b64 s[12:13], s[0:1], 0x38
	v_mul_lo_u16 v1, 0x8f, v1
	s_delay_alu instid0(VALU_DEP_1) | instskip(NEXT) | instid1(VALU_DEP_1)
	v_sub_nc_u16 v0, v0, v1
	v_and_b32_e32 v255, 0xffff, v0
	v_cmp_gt_u16_e32 vcc_lo, 0x79, v0
	s_delay_alu instid0(VALU_DEP_2)
	v_lshlrev_b32_e32 v169, 4, v255
	s_and_saveexec_b32 s3, vcc_lo
	s_cbranch_execz .LBB0_3
; %bb.2:
	s_load_b64 s[4:5], s[0:1], 0x18
	s_waitcnt lgkmcnt(0)
	v_add_co_u32 v15, s2, s14, v169
	s_delay_alu instid0(VALU_DEP_1) | instskip(NEXT) | instid1(VALU_DEP_2)
	v_add_co_ci_u32_e64 v23, null, s15, 0, s2
	v_add_co_u32 v16, s2, 0x1000, v15
	s_delay_alu instid0(VALU_DEP_1) | instskip(SKIP_1) | instid1(VALU_DEP_1)
	v_add_co_ci_u32_e64 v17, s2, 0, v23, s2
	v_add_co_u32 v24, s2, 0x2000, v15
	v_add_co_ci_u32_e64 v25, s2, 0, v23, s2
	v_add_co_u32 v32, s2, 0x3000, v15
	s_delay_alu instid0(VALU_DEP_1) | instskip(SKIP_4) | instid1(VALU_DEP_1)
	v_add_co_ci_u32_e64 v33, s2, 0, v23, s2
	v_add_co_u32 v40, s2, 0x4000, v15
	s_load_b128 s[8:11], s[4:5], 0x0
	v_add_co_ci_u32_e64 v41, s2, 0, v23, s2
	v_add_co_u32 v96, s2, 0x5000, v15
	v_add_co_ci_u32_e64 v97, s2, 0, v23, s2
	s_clause 0x2
	global_load_b128 v[0:3], v169, s[14:15]
	global_load_b128 v[4:7], v169, s[14:15] offset:1936
	global_load_b128 v[8:11], v169, s[14:15] offset:3872
	s_waitcnt lgkmcnt(0)
	v_mad_u64_u32 v[20:21], null, s8, v255, 0
	v_mad_u64_u32 v[12:13], null, s10, v132, 0
	s_mul_i32 s4, s9, 0x790
	s_mul_hi_u32 s5, s8, 0x790
	s_delay_alu instid0(SALU_CYCLE_1) | instskip(NEXT) | instid1(VALU_DEP_2)
	s_add_i32 s5, s5, s4
	v_mov_b32_e32 v14, v21
	s_delay_alu instid0(VALU_DEP_1) | instskip(NEXT) | instid1(VALU_DEP_1)
	v_mad_u64_u32 v[18:19], null, s11, v132, v[13:14]
	v_mov_b32_e32 v13, v18
	v_mad_u64_u32 v[21:22], null, s9, v255, v[14:15]
	s_delay_alu instid0(VALU_DEP_2)
	v_lshlrev_b64 v[22:23], 4, v[12:13]
	s_clause 0x1
	global_load_b128 v[12:15], v[16:17], off offset:1712
	global_load_b128 v[16:19], v[16:17], off offset:3648
	v_lshlrev_b64 v[20:21], 4, v[20:21]
	v_add_co_u32 v22, s2, s6, v22
	s_delay_alu instid0(VALU_DEP_1) | instskip(SKIP_1) | instid1(VALU_DEP_2)
	v_add_co_ci_u32_e64 v23, s2, s7, v23, s2
	s_mul_i32 s6, s8, 0x790
	v_add_co_u32 v44, s2, v22, v20
	s_delay_alu instid0(VALU_DEP_1) | instskip(SKIP_4) | instid1(VALU_DEP_1)
	v_add_co_ci_u32_e64 v45, s2, v23, v21, s2
	s_clause 0x1
	global_load_b128 v[20:23], v[24:25], off offset:1488
	global_load_b128 v[24:27], v[24:25], off offset:3424
	v_add_co_u32 v48, s2, v44, s6
	v_add_co_ci_u32_e64 v49, s2, s5, v45, s2
	s_clause 0x1
	global_load_b128 v[28:31], v[32:33], off offset:1264
	global_load_b128 v[32:35], v[32:33], off offset:3200
	v_add_co_u32 v52, s2, v48, s6
	s_delay_alu instid0(VALU_DEP_1) | instskip(SKIP_4) | instid1(VALU_DEP_1)
	v_add_co_ci_u32_e64 v53, s2, s5, v49, s2
	s_clause 0x1
	global_load_b128 v[36:39], v[40:41], off offset:1040
	global_load_b128 v[40:43], v[40:41], off offset:2976
	v_add_co_u32 v56, s2, v52, s6
	v_add_co_ci_u32_e64 v57, s2, s5, v53, s2
	s_clause 0x1
	global_load_b128 v[44:47], v[44:45], off
	global_load_b128 v[48:51], v[48:49], off
	v_add_co_u32 v60, s2, v56, s6
	s_delay_alu instid0(VALU_DEP_1) | instskip(SKIP_4) | instid1(VALU_DEP_1)
	v_add_co_ci_u32_e64 v61, s2, s5, v57, s2
	s_clause 0x1
	global_load_b128 v[52:55], v[52:53], off
	global_load_b128 v[56:59], v[56:57], off
	v_add_co_u32 v64, s2, v60, s6
	v_add_co_ci_u32_e64 v65, s2, s5, v61, s2
	global_load_b128 v[60:63], v[60:61], off
	v_add_co_u32 v68, s2, v64, s6
	s_delay_alu instid0(VALU_DEP_1) | instskip(SKIP_2) | instid1(VALU_DEP_1)
	v_add_co_ci_u32_e64 v69, s2, s5, v65, s2
	global_load_b128 v[64:67], v[64:65], off
	v_add_co_u32 v72, s2, v68, s6
	v_add_co_ci_u32_e64 v73, s2, s5, v69, s2
	global_load_b128 v[68:71], v[68:69], off
	v_add_co_u32 v76, s2, v72, s6
	s_delay_alu instid0(VALU_DEP_1) | instskip(SKIP_2) | instid1(VALU_DEP_1)
	v_add_co_ci_u32_e64 v77, s2, s5, v73, s2
	;; [unrolled: 7-line block ×3, first 2 shown]
	global_load_b128 v[80:83], v[80:81], off
	v_add_co_u32 v88, s2, v84, s6
	v_add_co_ci_u32_e64 v89, s2, s5, v85, s2
	s_delay_alu instid0(VALU_DEP_2) | instskip(NEXT) | instid1(VALU_DEP_1)
	v_add_co_u32 v100, s2, v88, s6
	v_add_co_ci_u32_e64 v101, s2, s5, v89, s2
	global_load_b128 v[84:87], v[84:85], off
	global_load_b128 v[88:91], v[88:89], off
	s_clause 0x1
	global_load_b128 v[92:95], v[96:97], off offset:816
	global_load_b128 v[96:99], v[96:97], off offset:2752
	global_load_b128 v[100:103], v[100:101], off
	s_waitcnt vmcnt(14)
	v_mul_f64 v[104:105], v[46:47], v[2:3]
	v_mul_f64 v[2:3], v[44:45], v[2:3]
	s_waitcnt vmcnt(13)
	v_mul_f64 v[106:107], v[50:51], v[6:7]
	v_mul_f64 v[6:7], v[48:49], v[6:7]
	;; [unrolled: 3-line block ×13, first 2 shown]
	v_fma_f64 v[42:43], v[44:45], v[0:1], v[104:105]
	v_fma_f64 v[44:45], v[46:47], v[0:1], -v[2:3]
	v_fma_f64 v[0:1], v[48:49], v[4:5], v[106:107]
	v_fma_f64 v[2:3], v[50:51], v[4:5], -v[6:7]
	;; [unrolled: 2-line block ×13, first 2 shown]
	ds_store_b128 v169, v[42:45]
	ds_store_b128 v169, v[0:3] offset:1936
	ds_store_b128 v169, v[4:7] offset:3872
	;; [unrolled: 1-line block ×12, first 2 shown]
.LBB0_3:
	s_or_b32 exec_lo, exec_lo, s3
	s_clause 0x1
	s_load_b64 s[2:3], s[0:1], 0x20
	s_load_b64 s[0:1], s[0:1], 0x8
	s_waitcnt lgkmcnt(0)
	s_barrier
	buffer_gl0_inv
                                        ; implicit-def: $vgpr16_vgpr17
                                        ; implicit-def: $vgpr44_vgpr45
                                        ; implicit-def: $vgpr48_vgpr49
                                        ; implicit-def: $vgpr56_vgpr57
                                        ; implicit-def: $vgpr52_vgpr53
                                        ; implicit-def: $vgpr40_vgpr41
                                        ; implicit-def: $vgpr36_vgpr37
                                        ; implicit-def: $vgpr32_vgpr33
                                        ; implicit-def: $vgpr28_vgpr29
                                        ; implicit-def: $vgpr24_vgpr25
                                        ; implicit-def: $vgpr20_vgpr21
                                        ; implicit-def: $vgpr12_vgpr13
                                        ; implicit-def: $vgpr8_vgpr9
	s_and_saveexec_b32 s4, vcc_lo
	s_cbranch_execz .LBB0_5
; %bb.4:
	ds_load_b128 v[16:19], v169
	ds_load_b128 v[44:47], v169 offset:1936
	ds_load_b128 v[48:51], v169 offset:3872
	;; [unrolled: 1-line block ×12, first 2 shown]
.LBB0_5:
	s_or_b32 exec_lo, exec_lo, s4
	s_waitcnt lgkmcnt(0)
	v_add_f64 v[151:152], v[46:47], -v[10:11]
	v_add_f64 v[80:81], v[44:45], -v[8:9]
	s_mov_b32 s8, 0x4267c47c
	s_mov_b32 s9, 0xbfddbe06
	v_add_f64 v[78:79], v[44:45], v[8:9]
	v_add_f64 v[153:154], v[46:47], v[10:11]
	v_add_f64 v[141:142], v[50:51], -v[14:15]
	v_add_f64 v[88:89], v[48:49], -v[12:13]
	s_mov_b32 s6, 0x42a4c3d2
	s_mov_b32 s16, 0xe00740e9
	s_mov_b32 s7, 0xbfea55e2
	s_mov_b32 s17, 0x3fec55a7
	v_add_f64 v[72:73], v[48:49], v[12:13]
	v_add_f64 v[145:146], v[50:51], v[14:15]
	v_add_f64 v[102:103], v[58:59], -v[22:23]
	v_add_f64 v[118:119], v[56:57], -v[20:21]
	s_mov_b32 s4, 0x1ea71119
	s_mov_b32 s10, 0x2ef20147
	s_mov_b32 s26, 0x66966769
	s_mov_b32 s5, 0x3fe22d96
	s_mov_b32 s11, 0xbfedeba7
	s_mov_b32 s27, 0xbfefc445
	v_add_f64 v[70:71], v[56:57], v[20:21]
	v_add_f64 v[149:150], v[58:59], v[22:23]
	v_add_f64 v[133:134], v[52:53], -v[24:25]
	v_add_f64 v[90:91], v[54:55], -v[26:27]
	s_mov_b32 s18, 0xb2365da1
	s_mov_b32 s20, 0x4bc48dbf
	;; [unrolled: 10-line block ×3, first 2 shown]
	v_mul_f64 v[106:107], v[151:152], s[8:9]
	v_mul_f64 v[108:109], v[80:81], s[8:9]
	;; [unrolled: 1-line block ×4, first 2 shown]
	s_mov_b32 s25, 0xbfef11f4
	s_mov_b32 s23, 0x3fe5384d
	v_mul_f64 v[86:87], v[141:142], s[6:7]
	v_mul_f64 v[98:99], v[88:89], s[6:7]
	;; [unrolled: 1-line block ×4, first 2 shown]
	s_mov_b32 s31, 0xbfe5384d
	s_mov_b32 s30, s22
	v_add_f64 v[124:125], v[42:43], v[30:31]
	v_add_f64 v[128:129], v[38:39], -v[34:35]
	v_mul_f64 v[120:121], v[102:103], s[26:27]
	v_mul_f64 v[122:123], v[118:119], s[26:27]
	;; [unrolled: 1-line block ×4, first 2 shown]
	s_mov_b32 s28, 0xd0032e0c
	s_mov_b32 s29, 0xbfe7f3cc
	;; [unrolled: 1-line block ×6, first 2 shown]
	v_mul_f64 v[139:140], v[133:134], s[10:11]
	v_mul_f64 v[135:136], v[90:91], s[10:11]
	;; [unrolled: 1-line block ×8, first 2 shown]
	v_fma_f64 v[0:1], v[78:79], s[16:17], v[106:107]
	v_fma_f64 v[2:3], v[153:154], s[16:17], -v[108:109]
	v_fma_f64 v[4:5], v[78:79], s[4:5], v[110:111]
	v_fma_f64 v[6:7], v[153:154], s[4:5], -v[114:115]
	;; [unrolled: 2-line block ×6, first 2 shown]
	v_fma_f64 v[159:160], v[155:156], s[18:19], -v[139:140]
	v_fma_f64 v[157:158], v[64:65], s[18:19], v[135:136]
	v_fma_f64 v[161:162], v[64:65], s[28:29], v[143:144]
	v_fma_f64 v[163:164], v[155:156], s[28:29], -v[147:148]
	v_fma_f64 v[167:168], v[124:125], s[28:29], -v[94:95]
	;; [unrolled: 1-line block ×3, first 2 shown]
	v_add_f64 v[0:1], v[16:17], v[0:1]
	v_add_f64 v[2:3], v[18:19], v[2:3]
	;; [unrolled: 1-line block ×4, first 2 shown]
	s_delay_alu instid0(VALU_DEP_4) | instskip(NEXT) | instid1(VALU_DEP_4)
	v_add_f64 v[0:1], v[60:61], v[0:1]
	v_add_f64 v[2:3], v[66:67], v[2:3]
	s_delay_alu instid0(VALU_DEP_4) | instskip(NEXT) | instid1(VALU_DEP_4)
	v_add_f64 v[4:5], v[68:69], v[4:5]
	v_add_f64 v[6:7], v[74:75], v[6:7]
	;; [unrolled: 1-line block ×3, first 2 shown]
	v_add_f64 v[60:61], v[36:37], -v[32:33]
	v_add_f64 v[68:69], v[36:37], v[32:33]
	v_mul_f64 v[74:75], v[128:129], s[20:21]
	v_add_f64 v[0:1], v[76:77], v[0:1]
	v_add_f64 v[2:3], v[82:83], v[2:3]
	;; [unrolled: 1-line block ×5, first 2 shown]
	v_mul_f64 v[76:77], v[60:61], s[20:21]
	v_fma_f64 v[165:166], v[66:67], s[28:29], v[92:93]
	v_mul_f64 v[82:83], v[128:129], s[38:39]
	v_mul_f64 v[84:85], v[60:61], s[38:39]
	v_fma_f64 v[171:172], v[66:67], s[34:35], v[96:97]
	v_add_f64 v[0:1], v[157:158], v[0:1]
	v_add_f64 v[2:3], v[159:160], v[2:3]
	;; [unrolled: 1-line block ×4, first 2 shown]
	v_fma_f64 v[157:158], v[68:69], s[24:25], v[74:75]
	v_fma_f64 v[159:160], v[137:138], s[24:25], -v[76:77]
	v_fma_f64 v[161:162], v[68:69], s[16:17], v[82:83]
	v_fma_f64 v[163:164], v[137:138], s[16:17], -v[84:85]
	v_add_f64 v[0:1], v[165:166], v[0:1]
	v_add_f64 v[2:3], v[167:168], v[2:3]
	;; [unrolled: 1-line block ×4, first 2 shown]
	s_delay_alu instid0(VALU_DEP_4) | instskip(NEXT) | instid1(VALU_DEP_4)
	v_add_f64 v[0:1], v[157:158], v[0:1]
	v_add_f64 v[2:3], v[159:160], v[2:3]
	scratch_store_b128 off, v[0:3], off     ; 16-byte Folded Spill
	v_add_f64 v[0:1], v[161:162], v[4:5]
	v_add_f64 v[2:3], v[163:164], v[6:7]
	scratch_store_b128 off, v[0:3], off offset:16 ; 16-byte Folded Spill
	s_waitcnt_vscnt null, 0x0
	s_barrier
	buffer_gl0_inv
	s_and_saveexec_b32 s33, vcc_lo
	s_cbranch_execz .LBB0_7
; %bb.6:
	v_add_f64 v[46:47], v[18:19], v[46:47]
	v_add_f64 v[44:45], v[16:17], v[44:45]
	v_mul_f64 v[159:160], v[153:154], s[18:19]
	v_mul_f64 v[163:164], v[153:154], s[16:17]
	v_mul_f64 v[165:166], v[78:79], s[4:5]
	v_mul_f64 v[167:168], v[153:154], s[34:35]
	v_mul_f64 v[161:162], v[151:152], s[10:11]
	s_mov_b32 s41, 0x3fedeba7
	s_mov_b32 s40, s10
	;; [unrolled: 1-line block ×4, first 2 shown]
	v_mul_f64 v[157:158], v[78:79], s[16:17]
	v_mul_f64 v[172:173], v[72:73], s[18:19]
	;; [unrolled: 1-line block ×22, first 2 shown]
	s_mov_b32 s43, 0x3fea55e2
	s_mov_b32 s42, s6
	v_mul_f64 v[216:217], v[72:73], s[4:5]
	v_mul_f64 v[220:221], v[102:103], s[30:31]
	;; [unrolled: 1-line block ×3, first 2 shown]
	v_add_f64 v[46:47], v[46:47], v[50:51]
	v_add_f64 v[44:45], v[44:45], v[48:49]
	v_mul_f64 v[48:49], v[153:154], s[24:25]
	v_mul_f64 v[50:51], v[151:152], s[20:21]
	v_fma_f64 v[242:243], v[80:81], s[40:41], v[159:160]
	v_fma_f64 v[159:160], v[80:81], s[10:11], v[159:160]
	;; [unrolled: 1-line block ×3, first 2 shown]
	v_add_f64 v[110:111], v[165:166], -v[110:111]
	v_fma_f64 v[244:245], v[78:79], s[18:19], v[161:162]
	v_fma_f64 v[161:162], v[78:79], s[18:19], -v[161:162]
	v_add_f64 v[108:109], v[108:109], v[163:164]
	v_add_f64 v[106:107], v[157:158], -v[106:107]
	v_add_f64 v[104:105], v[172:173], -v[104:105]
	v_add_f64 v[112:113], v[112:113], v[174:175]
	v_add_f64 v[126:127], v[176:177], -v[126:127]
	v_fma_f64 v[157:158], v[88:89], s[8:9], v[184:185]
	v_fma_f64 v[163:164], v[88:89], s[38:39], v[184:185]
	;; [unrolled: 1-line block ×9, first 2 shown]
	v_fma_f64 v[192:193], v[72:73], s[16:17], -v[192:193]
	v_mul_f64 v[224:225], v[102:103], s[38:39]
	v_fma_f64 v[172:173], v[72:73], s[34:35], v[206:207]
	v_add_f64 v[135:136], v[210:211], -v[135:136]
	v_mul_f64 v[102:103], v[102:103], s[40:41]
	v_fma_f64 v[206:207], v[72:73], s[34:35], -v[206:207]
	v_mul_f64 v[180:181], v[64:65], s[28:29]
	v_mul_f64 v[212:213], v[70:71], s[34:35]
	v_add_f64 v[98:99], v[98:99], v[145:146]
	v_mul_f64 v[214:215], v[90:91], s[26:27]
	v_mul_f64 v[218:219], v[90:91], s[38:39]
	v_add_f64 v[130:131], v[130:131], v[178:179]
	v_add_f64 v[86:87], v[216:217], -v[86:87]
	v_mul_f64 v[230:231], v[66:67], s[34:35]
	v_add_f64 v[46:47], v[46:47], v[58:59]
	v_add_f64 v[44:45], v[44:45], v[56:57]
	v_mul_f64 v[56:57], v[153:154], s[28:29]
	v_mul_f64 v[58:59], v[151:152], s[30:31]
	;; [unrolled: 1-line block ×4, first 2 shown]
	v_fma_f64 v[234:235], v[80:81], s[44:45], v[48:49]
	v_fma_f64 v[236:237], v[78:79], s[24:25], v[50:51]
	v_fma_f64 v[48:49], v[80:81], s[20:21], v[48:49]
	v_fma_f64 v[50:51], v[78:79], s[24:25], -v[50:51]
	v_add_f64 v[110:111], v[16:17], v[110:111]
	v_add_f64 v[159:160], v[18:19], v[159:160]
	;; [unrolled: 1-line block ×7, first 2 shown]
	v_mul_f64 v[182:183], v[124:125], s[34:35]
	v_mul_f64 v[216:217], v[116:117], s[38:39]
	;; [unrolled: 1-line block ×7, first 2 shown]
	v_mul_lo_u16 v0, v255, 13
	s_delay_alu instid0(VALU_DEP_1)
	v_and_b32_e32 v0, 0xffff, v0
	v_add_f64 v[143:144], v[180:181], -v[143:144]
	v_add_f64 v[120:121], v[212:213], -v[120:121]
	v_mul_f64 v[180:181], v[68:69], s[16:17]
	v_mul_f64 v[212:213], v[128:129], s[10:11]
	v_lshlrev_b32_e32 v0, 4, v0
	v_add_f64 v[96:97], v[230:231], -v[96:97]
	v_add_f64 v[46:47], v[46:47], v[54:55]
	v_add_f64 v[44:45], v[44:45], v[52:53]
	v_mul_f64 v[52:53], v[155:156], s[4:5]
	v_mul_f64 v[54:55], v[149:150], s[28:29]
	v_fma_f64 v[238:239], v[80:81], s[22:23], v[56:57]
	v_fma_f64 v[240:241], v[78:79], s[28:29], v[58:59]
	;; [unrolled: 1-line block ×4, first 2 shown]
	v_add_f64 v[114:115], v[114:115], v[153:154]
	v_mul_f64 v[155:156], v[155:156], s[18:19]
	v_mul_f64 v[149:150], v[149:150], s[34:35]
	v_fma_f64 v[58:59], v[78:79], s[28:29], -v[58:59]
	v_fma_f64 v[248:249], v[78:79], s[34:35], v[151:152]
	v_fma_f64 v[78:79], v[78:79], s[34:35], -v[151:152]
	v_fma_f64 v[167:168], v[118:119], s[42:43], v[188:189]
	v_fma_f64 v[188:189], v[118:119], s[6:7], v[188:189]
	v_add_f64 v[210:211], v[16:17], v[236:237]
	v_add_f64 v[48:49], v[18:19], v[48:49]
	;; [unrolled: 1-line block ×5, first 2 shown]
	v_mul_f64 v[236:237], v[124:125], s[16:17]
	v_add_f64 v[100:101], v[100:101], v[182:183]
	v_mul_f64 v[234:235], v[137:138], s[18:19]
	v_add_f64 v[92:93], v[226:227], -v[92:93]
	v_add_f64 v[94:95], v[94:95], v[228:229]
	v_add_f64 v[76:77], v[76:77], v[174:175]
	v_add_f64 v[74:75], v[178:179], -v[74:75]
	v_add_f64 v[82:83], v[180:181], -v[82:83]
	v_add_f64 v[42:43], v[46:47], v[42:43]
	v_add_f64 v[40:41], v[44:45], v[40:41]
	v_fma_f64 v[151:152], v[133:134], s[6:7], v[52:53]
	v_fma_f64 v[153:154], v[118:119], s[22:23], v[54:55]
	;; [unrolled: 1-line block ×4, first 2 shown]
	v_add_f64 v[240:241], v[16:17], v[240:241]
	v_add_f64 v[56:57], v[18:19], v[56:57]
	;; [unrolled: 1-line block ×5, first 2 shown]
	v_fma_f64 v[155:156], v[72:73], s[28:29], v[208:209]
	v_fma_f64 v[208:209], v[72:73], s[28:29], -v[208:209]
	v_add_f64 v[122:123], v[122:123], v[149:150]
	v_fma_f64 v[149:150], v[72:73], s[24:25], v[141:142]
	v_fma_f64 v[72:73], v[72:73], s[24:25], -v[141:142]
	v_add_f64 v[238:239], v[18:19], v[238:239]
	v_add_f64 v[78:79], v[16:17], v[78:79]
	;; [unrolled: 1-line block ×5, first 2 shown]
	v_fma_f64 v[106:107], v[70:71], s[4:5], v[222:223]
	v_add_f64 v[176:177], v[176:177], v[210:211]
	v_mul_f64 v[210:211], v[90:91], s[42:43]
	v_add_f64 v[48:49], v[163:164], v[48:49]
	v_mul_f64 v[90:91], v[90:91], s[44:45]
	v_add_f64 v[50:51], v[192:193], v[50:51]
	v_add_f64 v[18:19], v[18:19], v[108:109]
	v_fma_f64 v[108:109], v[70:71], s[4:5], -v[222:223]
	v_fma_f64 v[222:223], v[70:71], s[16:17], -v[224:225]
	v_add_f64 v[145:146], v[157:158], v[145:146]
	v_mul_f64 v[44:45], v[124:125], s[18:19]
	v_add_f64 v[104:105], v[126:127], v[104:105]
	v_mul_f64 v[157:158], v[124:125], s[24:25]
	v_mul_f64 v[124:125], v[124:125], s[4:5]
	v_mul_f64 v[163:164], v[116:117], s[6:7]
	v_mul_f64 v[46:47], v[128:129], s[36:37]
	v_mul_f64 v[141:142], v[137:138], s[16:17]
	v_add_f64 v[38:39], v[42:43], v[38:39]
	v_add_f64 v[36:37], v[40:41], v[36:37]
	v_fma_f64 v[40:41], v[88:89], s[30:31], v[198:199]
	v_fma_f64 v[42:43], v[133:134], s[26:27], v[194:195]
	v_fma_f64 v[194:195], v[118:119], s[38:39], v[196:197]
	v_fma_f64 v[196:197], v[88:89], s[22:23], v[198:199]
	v_fma_f64 v[198:199], v[133:134], s[8:9], v[200:201]
	v_fma_f64 v[133:134], v[133:134], s[38:39], v[200:201]
	v_fma_f64 v[200:201], v[118:119], s[10:11], v[202:203]
	v_fma_f64 v[118:119], v[118:119], s[40:41], v[202:203]
	v_fma_f64 v[202:203], v[88:89], s[44:45], v[204:205]
	v_fma_f64 v[88:89], v[88:89], s[20:21], v[204:205]
	v_mul_f64 v[204:205], v[116:117], s[10:11]
	v_add_f64 v[172:173], v[172:173], v[240:241]
	v_add_f64 v[56:57], v[190:191], v[56:57]
	;; [unrolled: 1-line block ×8, first 2 shown]
	v_mul_f64 v[116:117], v[116:117], s[44:45]
	v_fma_f64 v[86:87], v[64:65], s[16:17], v[218:219]
	v_fma_f64 v[206:207], v[64:65], s[4:5], -v[210:211]
	v_add_f64 v[48:49], v[54:55], v[48:49]
	v_fma_f64 v[208:209], v[64:65], s[24:25], v[90:91]
	v_mul_f64 v[192:193], v[128:129], s[30:31]
	v_add_f64 v[18:19], v[98:99], v[18:19]
	v_fma_f64 v[98:99], v[64:65], s[16:17], -v[218:219]
	v_mul_f64 v[128:129], v[128:129], s[42:43]
	v_fma_f64 v[155:156], v[62:63], s[40:41], v[44:45]
	v_fma_f64 v[44:45], v[62:63], s[10:11], v[44:45]
	;; [unrolled: 1-line block ×4, first 2 shown]
	v_fma_f64 v[46:47], v[68:69], s[34:35], -v[46:47]
	v_add_f64 v[34:35], v[38:39], v[34:35]
	v_add_f64 v[32:33], v[36:37], v[32:33]
	v_fma_f64 v[36:37], v[70:71], s[28:29], v[220:221]
	v_fma_f64 v[38:39], v[70:71], s[28:29], -v[220:221]
	v_fma_f64 v[220:221], v[70:71], s[16:17], v[224:225]
	v_fma_f64 v[224:225], v[70:71], s[18:19], v[102:103]
	v_fma_f64 v[70:71], v[70:71], s[18:19], -v[102:103]
	v_add_f64 v[159:160], v[196:197], v[159:160]
	v_add_f64 v[40:41], v[40:41], v[242:243]
	v_mul_f64 v[102:103], v[137:138], s[4:5]
	v_mul_f64 v[137:138], v[137:138], s[28:29]
	v_add_f64 v[80:81], v[88:89], v[80:81]
	v_add_f64 v[88:89], v[112:113], v[114:115]
	;; [unrolled: 1-line block ×4, first 2 shown]
	v_fma_f64 v[190:191], v[66:67], s[18:19], v[204:205]
	v_fma_f64 v[202:203], v[66:67], s[18:19], -v[204:205]
	v_fma_f64 v[204:205], v[64:65], s[4:5], v[210:211]
	v_add_f64 v[54:55], v[106:107], v[172:173]
	v_add_f64 v[56:57], v[188:189], v[56:57]
	;; [unrolled: 1-line block ×4, first 2 shown]
	v_fma_f64 v[120:121], v[62:63], s[44:45], v[157:158]
	v_add_f64 v[84:85], v[84:85], v[141:142]
	v_add_f64 v[48:49], v[52:53], v[48:49]
	v_fma_f64 v[149:150], v[60:61], s[26:27], v[232:233]
	v_fma_f64 v[196:197], v[60:61], s[36:37], v[232:233]
	v_add_f64 v[18:19], v[122:123], v[18:19]
	v_fma_f64 v[122:123], v[62:63], s[42:43], v[124:125]
	v_add_f64 v[30:31], v[34:35], v[30:31]
	v_add_f64 v[28:29], v[32:33], v[28:29]
	;; [unrolled: 1-line block ×5, first 2 shown]
	v_fma_f64 v[34:35], v[64:65], s[34:35], -v[214:215]
	v_add_f64 v[70:71], v[70:71], v[72:73]
	v_add_f64 v[106:107], v[194:195], v[159:160]
	;; [unrolled: 1-line block ×3, first 2 shown]
	v_fma_f64 v[32:33], v[64:65], s[34:35], v[214:215]
	v_fma_f64 v[64:65], v[64:65], s[24:25], -v[90:91]
	v_add_f64 v[80:81], v[118:119], v[80:81]
	v_add_f64 v[88:89], v[130:131], v[88:89]
	;; [unrolled: 1-line block ×7, first 2 shown]
	v_fma_f64 v[112:113], v[62:63], s[38:39], v[236:237]
	v_add_f64 v[52:53], v[208:209], v[54:55]
	v_add_f64 v[54:55], v[186:187], v[56:57]
	v_fma_f64 v[118:119], v[62:63], s[20:21], v[157:158]
	v_fma_f64 v[114:115], v[66:67], s[16:17], -v[216:217]
	v_fma_f64 v[130:131], v[66:67], s[24:25], v[116:117]
	v_add_f64 v[16:17], v[135:136], v[16:17]
	v_add_f64 v[44:45], v[44:45], v[48:49]
	;; [unrolled: 1-line block ×5, first 2 shown]
	v_fma_f64 v[30:31], v[66:67], s[16:17], v[216:217]
	v_add_f64 v[36:37], v[204:205], v[36:37]
	v_add_f64 v[38:39], v[206:207], v[38:39]
	v_fma_f64 v[28:29], v[62:63], s[8:9], v[236:237]
	v_fma_f64 v[62:63], v[62:63], s[6:7], v[124:125]
	v_fma_f64 v[124:125], v[66:67], s[4:5], -v[163:164]
	v_add_f64 v[50:51], v[165:166], v[50:51]
	v_add_f64 v[70:71], v[98:99], v[70:71]
	v_fma_f64 v[66:67], v[66:67], s[24:25], -v[116:117]
	v_add_f64 v[56:57], v[133:134], v[80:81]
	v_add_f64 v[80:81], v[147:148], v[88:89]
	;; [unrolled: 1-line block ×12, first 2 shown]
	v_fma_f64 v[78:79], v[60:61], s[10:11], v[234:235]
	v_fma_f64 v[98:99], v[60:61], s[6:7], v[102:103]
	;; [unrolled: 1-line block ×4, first 2 shown]
	v_fma_f64 v[108:109], v[68:69], s[28:29], -v[192:193]
	v_fma_f64 v[86:87], v[68:69], s[18:19], -v[212:213]
	v_fma_f64 v[106:107], v[68:69], s[28:29], v[192:193]
	v_fma_f64 v[110:111], v[68:69], s[4:5], v[128:129]
	v_add_f64 v[92:93], v[92:93], v[16:17]
	v_add_f64 v[22:23], v[26:27], v[22:23]
	;; [unrolled: 1-line block ×6, first 2 shown]
	v_fma_f64 v[24:25], v[60:61], s[40:41], v[234:235]
	v_fma_f64 v[60:61], v[60:61], s[30:31], v[137:138]
	v_fma_f64 v[26:27], v[68:69], s[18:19], v[212:213]
	v_add_f64 v[28:29], v[28:29], v[50:51]
	v_fma_f64 v[68:69], v[68:69], s[4:5], -v[128:129]
	v_add_f64 v[50:51], v[62:63], v[56:57]
	v_add_f64 v[52:53], v[100:101], v[80:81]
	;; [unrolled: 1-line block ×35, first 2 shown]
	ds_store_b128 v0, v[36:39] offset:32
	ds_store_b128 v0, v[32:35] offset:48
	;; [unrolled: 1-line block ×9, first 2 shown]
	scratch_load_b128 v[1:4], off, off offset:16 ; 16-byte Folded Reload
	v_add_f64 v[10:11], v[80:81], v[10:11]
	v_add_f64 v[8:9], v[88:89], v[8:9]
	s_waitcnt vmcnt(0)
	ds_store_b128 v0, v[1:4] offset:176
	ds_store_b128 v0, v[8:11]
	ds_store_b128 v0, v[48:51] offset:16
	scratch_load_b128 v[1:4], off, off      ; 16-byte Folded Reload
	s_waitcnt vmcnt(0)
	ds_store_b128 v0, v[1:4] offset:192
.LBB0_7:
	s_or_b32 exec_lo, exec_lo, s33
	v_and_b32_e32 v0, 0xff, v255
	s_load_b128 s[4:7], s[2:3], 0x0
	s_waitcnt lgkmcnt(0)
	s_barrier
	buffer_gl0_inv
	v_mul_lo_u16 v0, 0x4f, v0
	s_mov_b32 s24, 0xf8bb580b
	s_mov_b32 s36, 0x8eee2c13
	;; [unrolled: 1-line block ×4, first 2 shown]
	v_lshrrev_b16 v44, 10, v0
	s_mov_b32 s26, 0xfd768dbf
	s_mov_b32 s25, 0xbfe14ced
	;; [unrolled: 1-line block ×4, first 2 shown]
	v_mul_lo_u16 v0, v44, 13
	s_mov_b32 s23, 0xbfe82f19
	s_mov_b32 s27, 0xbfd207e7
	;; [unrolled: 1-line block ×4, first 2 shown]
	v_sub_nc_u16 v0, v255, v0
	s_mov_b32 s16, 0x640f44db
	s_mov_b32 s8, 0x7f775887
	s_mov_b32 s2, 0x9bcd5057
	s_mov_b32 s19, 0x3feaeb8c
	v_and_b32_e32 v45, 0xff, v0
	s_mov_b32 s11, 0x3fda9628
	s_mov_b32 s17, 0xbfc2375f
	s_mov_b32 s9, 0xbfe4f49e
	s_mov_b32 s3, 0xbfeeb42a
	v_mul_u32_u24_e32 v0, 10, v45
	s_mov_b32 s39, 0x3fd207e7
	s_mov_b32 s38, s26
	;; [unrolled: 1-line block ×4, first 2 shown]
	v_lshlrev_b32_e32 v46, 4, v0
	s_mov_b32 s29, 0x3fe14ced
	s_mov_b32 s28, s24
	;; [unrolled: 1-line block ×4, first 2 shown]
	s_clause 0x3
	global_load_b128 v[16:19], v46, s[0:1]
	global_load_b128 v[0:3], v46, s[0:1] offset:144
	global_load_b128 v[20:23], v46, s[0:1] offset:16
	global_load_b128 v[4:7], v46, s[0:1] offset:128
	ds_load_b128 v[24:27], v169 offset:2288
	ds_load_b128 v[28:31], v169 offset:22880
	ds_load_b128 v[56:59], v169
	s_waitcnt vmcnt(3) lgkmcnt(2)
	v_mul_f64 v[32:33], v[26:27], v[18:19]
	v_mul_f64 v[34:35], v[24:25], v[18:19]
	s_waitcnt vmcnt(2) lgkmcnt(1)
	v_mul_f64 v[36:37], v[28:29], v[2:3]
	v_mul_f64 v[38:39], v[30:31], v[2:3]
	scratch_store_b128 off, v[0:3], off offset:32 ; 16-byte Folded Spill
	v_fma_f64 v[68:69], v[24:25], v[16:17], -v[32:33]
	v_fma_f64 v[70:71], v[26:27], v[16:17], v[34:35]
	ds_load_b128 v[24:27], v169 offset:4576
	v_fma_f64 v[94:95], v[30:31], v[0:1], v[36:37]
	v_fma_f64 v[92:93], v[28:29], v[0:1], -v[38:39]
	ds_load_b128 v[36:39], v169 offset:6864
	v_and_b32_e32 v0, 0xffff, v44
	s_delay_alu instid0(VALU_DEP_1)
	v_mul_u32_u24_e32 v0, 0x8f, v0
	s_waitcnt vmcnt(1) lgkmcnt(1)
	v_mul_f64 v[28:29], v[26:27], v[22:23]
	v_add_f64 v[137:138], v[56:57], v[68:69]
	v_add_f64 v[139:140], v[58:59], v[70:71]
	;; [unrolled: 1-line block ×3, first 2 shown]
	s_delay_alu instid0(VALU_DEP_4) | instskip(SKIP_1) | instid1(VALU_DEP_1)
	v_fma_f64 v[96:97], v[24:25], v[20:21], -v[28:29]
	v_mul_f64 v[24:25], v[24:25], v[22:23]
	v_fma_f64 v[98:99], v[26:27], v[20:21], v[24:25]
	ds_load_b128 v[24:27], v169 offset:20592
	ds_load_b128 v[47:50], v169 offset:18304
	s_waitcnt vmcnt(0)
	scratch_store_b128 off, v[4:7], off offset:48 ; 16-byte Folded Spill
	s_waitcnt lgkmcnt(1)
	v_mul_f64 v[28:29], v[24:25], v[6:7]
	s_delay_alu instid0(VALU_DEP_1)
	v_fma_f64 v[100:101], v[26:27], v[4:5], v[28:29]
	s_clause 0x1
	global_load_b128 v[32:35], v46, s[0:1] offset:32
	global_load_b128 v[28:31], v46, s[0:1] offset:48
	v_mul_f64 v[26:27], v[26:27], v[6:7]
	v_add_f64 v[151:152], v[98:99], v[100:101]
	s_delay_alu instid0(VALU_DEP_2) | instskip(NEXT) | instid1(VALU_DEP_1)
	v_fma_f64 v[102:103], v[24:25], v[4:5], -v[26:27]
	v_add_f64 v[145:146], v[96:97], v[102:103]
	v_add_f64 v[149:150], v[96:97], -v[102:103]
	v_add_f64 v[96:97], v[137:138], v[96:97]
	s_delay_alu instid0(VALU_DEP_2) | instskip(SKIP_4) | instid1(VALU_DEP_1)
	v_mul_f64 v[153:154], v[149:150], s[36:37]
	v_mul_f64 v[194:195], v[149:150], s[22:23]
	v_mul_f64 v[210:211], v[149:150], s[38:39]
	s_waitcnt vmcnt(1)
	v_mul_f64 v[24:25], v[38:39], v[34:35]
	v_fma_f64 v[104:105], v[36:37], v[32:33], -v[24:25]
	v_mul_f64 v[24:25], v[36:37], v[34:35]
	s_delay_alu instid0(VALU_DEP_2) | instskip(NEXT) | instid1(VALU_DEP_2)
	v_add_f64 v[96:97], v[96:97], v[104:105]
	v_fma_f64 v[106:107], v[38:39], v[32:33], v[24:25]
	s_clause 0x1
	global_load_b128 v[40:43], v46, s[0:1] offset:112
	global_load_b128 v[36:39], v46, s[0:1] offset:96
	s_waitcnt vmcnt(1) lgkmcnt(0)
	v_mul_f64 v[24:25], v[47:48], v[42:43]
	s_delay_alu instid0(VALU_DEP_1) | instskip(SKIP_1) | instid1(VALU_DEP_2)
	v_fma_f64 v[108:109], v[49:50], v[40:41], v[24:25]
	v_mul_f64 v[24:25], v[49:50], v[42:43]
	v_add_f64 v[161:162], v[106:107], v[108:109]
	s_delay_alu instid0(VALU_DEP_2)
	v_fma_f64 v[110:111], v[47:48], v[40:41], -v[24:25]
	ds_load_b128 v[24:27], v169 offset:9152
	ds_load_b128 v[60:63], v169 offset:11440
	s_waitcnt lgkmcnt(1)
	v_mul_f64 v[47:48], v[26:27], v[30:31]
	v_add_f64 v[155:156], v[104:105], v[110:111]
	v_add_f64 v[159:160], v[104:105], -v[110:111]
	s_delay_alu instid0(VALU_DEP_3) | instskip(SKIP_1) | instid1(VALU_DEP_3)
	v_fma_f64 v[112:113], v[24:25], v[28:29], -v[47:48]
	v_mul_f64 v[24:25], v[24:25], v[30:31]
	v_mul_f64 v[163:164], v[159:160], s[20:21]
	v_mul_f64 v[198:199], v[159:160], s[38:39]
	v_mul_f64 v[214:215], v[159:160], s[30:31]
	v_mul_f64 v[226:227], v[159:160], s[24:25]
	v_add_f64 v[96:97], v[96:97], v[112:113]
	v_fma_f64 v[114:115], v[26:27], v[28:29], v[24:25]
	ds_load_b128 v[24:27], v169 offset:16016
	ds_load_b128 v[64:67], v169 offset:13728
	s_waitcnt vmcnt(0) lgkmcnt(1)
	v_mul_f64 v[47:48], v[26:27], v[38:39]
	s_delay_alu instid0(VALU_DEP_1)
	v_fma_f64 v[116:117], v[24:25], v[36:37], -v[47:48]
	s_clause 0x1
	global_load_b128 v[52:55], v46, s[0:1] offset:64
	global_load_b128 v[48:51], v46, s[0:1] offset:80
	v_mul_f64 v[24:25], v[24:25], v[38:39]
	s_waitcnt vmcnt(0) lgkmcnt(0)
	s_waitcnt_vscnt null, 0x0
	s_barrier
	buffer_gl0_inv
	v_add_f64 v[167:168], v[112:113], v[116:117]
	v_add_f64 v[174:175], v[112:113], -v[116:117]
	v_fma_f64 v[118:119], v[26:27], v[36:37], v[24:25]
	s_delay_alu instid0(VALU_DEP_2) | instskip(NEXT) | instid1(VALU_DEP_2)
	v_mul_f64 v[178:179], v[174:175], s[22:23]
	v_add_f64 v[165:166], v[114:115], -v[118:119]
	v_add_f64 v[176:177], v[114:115], v[118:119]
	v_mul_f64 v[202:203], v[174:175], s[34:35]
	v_mul_f64 v[218:219], v[174:175], s[24:25]
	;; [unrolled: 1-line block ×8, first 2 shown]
	s_delay_alu instid0(VALU_DEP_1) | instskip(SKIP_1) | instid1(VALU_DEP_1)
	v_fma_f64 v[46:47], v[60:61], v[52:53], -v[24:25]
	v_mul_f64 v[24:25], v[60:61], v[54:55]
	v_fma_f64 v[120:121], v[62:63], v[52:53], v[24:25]
	v_mul_f64 v[24:25], v[66:67], v[50:51]
	s_delay_alu instid0(VALU_DEP_1) | instskip(SKIP_1) | instid1(VALU_DEP_2)
	v_fma_f64 v[122:123], v[64:65], v[48:49], -v[24:25]
	v_mul_f64 v[24:25], v[64:65], v[50:51]
	v_add_f64 v[182:183], v[46:47], v[122:123]
	s_delay_alu instid0(VALU_DEP_2)
	v_fma_f64 v[124:125], v[66:67], v[48:49], v[24:25]
	v_add_f64 v[24:25], v[70:71], -v[94:95]
	v_add_f64 v[66:67], v[68:69], v[92:93]
	v_add_f64 v[186:187], v[46:47], -v[122:123]
	v_add_f64 v[46:47], v[96:97], v[46:47]
	v_add_f64 v[180:181], v[120:121], -v[124:125]
	v_mul_f64 v[26:27], v[24:25], s[24:25]
	v_mul_f64 v[60:61], v[24:25], s[36:37]
	;; [unrolled: 1-line block ×5, first 2 shown]
	v_add_f64 v[188:189], v[120:121], v[124:125]
	v_mul_f64 v[190:191], v[186:187], s[26:27]
	v_mul_f64 v[206:207], v[186:187], s[28:29]
	;; [unrolled: 1-line block ×4, first 2 shown]
	v_add_f64 v[46:47], v[46:47], v[122:123]
	v_mul_f64 v[184:185], v[180:181], s[26:27]
	v_fma_f64 v[72:73], v[66:67], s[18:19], -v[26:27]
	v_fma_f64 v[26:27], v[66:67], s[18:19], v[26:27]
	v_fma_f64 v[74:75], v[66:67], s[10:11], -v[60:61]
	v_fma_f64 v[60:61], v[66:67], s[10:11], v[60:61]
	;; [unrolled: 2-line block ×5, first 2 shown]
	v_add_f64 v[66:67], v[68:69], -v[92:93]
	v_mul_f64 v[204:205], v[180:181], s[28:29]
	v_mul_f64 v[220:221], v[180:181], s[22:23]
	;; [unrolled: 1-line block ×3, first 2 shown]
	v_add_f64 v[46:47], v[46:47], v[116:117]
	v_add_f64 v[26:27], v[56:57], v[26:27]
	;; [unrolled: 1-line block ×4, first 2 shown]
	v_mul_f64 v[82:83], v[66:67], s[24:25]
	v_mul_f64 v[84:85], v[66:67], s[36:37]
	;; [unrolled: 1-line block ×5, first 2 shown]
	v_add_f64 v[46:47], v[46:47], v[110:111]
	v_fma_f64 v[135:136], v[90:91], s[18:19], -v[82:83]
	v_fma_f64 v[82:83], v[90:91], s[18:19], v[82:83]
	v_fma_f64 v[126:127], v[90:91], s[10:11], v[84:85]
	;; [unrolled: 1-line block ×4, first 2 shown]
	v_fma_f64 v[84:85], v[90:91], s[10:11], -v[84:85]
	v_fma_f64 v[86:87], v[90:91], s[16:17], -v[86:87]
	;; [unrolled: 1-line block ×3, first 2 shown]
	v_fma_f64 v[133:134], v[90:91], s[2:3], v[66:67]
	v_fma_f64 v[66:67], v[90:91], s[2:3], -v[66:67]
	v_add_f64 v[90:91], v[56:57], v[72:73]
	v_add_f64 v[46:47], v[46:47], v[102:103]
	;; [unrolled: 1-line block ×4, first 2 shown]
	v_add_f64 v[82:83], v[98:99], -v[100:101]
	v_add_f64 v[135:136], v[56:57], v[24:25]
	v_add_f64 v[72:73], v[58:59], v[126:127]
	;; [unrolled: 1-line block ×14, first 2 shown]
	v_fma_f64 v[58:59], v[151:152], s[8:9], v[194:195]
	v_add_f64 v[98:99], v[139:140], v[98:99]
	v_add_f64 v[92:93], v[46:47], v[92:93]
	v_mul_f64 v[147:148], v[82:83], s[36:37]
	v_mul_f64 v[192:193], v[82:83], s[22:23]
	;; [unrolled: 1-line block ×4, first 2 shown]
	v_add_f64 v[58:59], v[58:59], v[72:73]
	v_mul_f64 v[72:73], v[82:83], s[28:29]
	v_add_f64 v[98:99], v[98:99], v[106:107]
	v_fma_f64 v[24:25], v[145:146], s[10:11], v[147:148]
	s_delay_alu instid0(VALU_DEP_2) | instskip(NEXT) | instid1(VALU_DEP_2)
	v_add_f64 v[98:99], v[98:99], v[114:115]
	v_add_f64 v[24:25], v[24:25], v[26:27]
	v_fma_f64 v[26:27], v[151:152], s[10:11], -v[153:154]
	s_delay_alu instid0(VALU_DEP_3) | instskip(NEXT) | instid1(VALU_DEP_2)
	v_add_f64 v[96:97], v[98:99], v[120:121]
	v_add_f64 v[26:27], v[26:27], v[68:69]
	v_add_f64 v[68:69], v[106:107], -v[108:109]
	s_delay_alu instid0(VALU_DEP_3) | instskip(NEXT) | instid1(VALU_DEP_2)
	v_add_f64 v[96:97], v[96:97], v[124:125]
	v_mul_f64 v[157:158], v[68:69], s[20:21]
	v_mul_f64 v[196:197], v[68:69], s[38:39]
	;; [unrolled: 1-line block ×4, first 2 shown]
	v_add_f64 v[96:97], v[96:97], v[118:119]
	v_fma_f64 v[56:57], v[155:156], s[16:17], v[157:158]
	v_fma_f64 v[62:63], v[155:156], s[2:3], -v[196:197]
	v_fma_f64 v[64:65], v[155:156], s[10:11], -v[212:213]
	s_delay_alu instid0(VALU_DEP_4) | instskip(NEXT) | instid1(VALU_DEP_4)
	v_add_f64 v[96:97], v[96:97], v[108:109]
	v_add_f64 v[24:25], v[56:57], v[24:25]
	v_fma_f64 v[56:57], v[161:162], s[16:17], -v[163:164]
	s_delay_alu instid0(VALU_DEP_3) | instskip(NEXT) | instid1(VALU_DEP_2)
	v_add_f64 v[96:97], v[96:97], v[100:101]
	v_add_f64 v[26:27], v[56:57], v[26:27]
	v_fma_f64 v[56:57], v[167:168], s[8:9], v[172:173]
	s_delay_alu instid0(VALU_DEP_3) | instskip(NEXT) | instid1(VALU_DEP_2)
	v_add_f64 v[94:95], v[96:97], v[94:95]
	v_add_f64 v[24:25], v[56:57], v[24:25]
	v_fma_f64 v[56:57], v[176:177], s[8:9], -v[178:179]
	s_delay_alu instid0(VALU_DEP_1) | instskip(SKIP_1) | instid1(VALU_DEP_1)
	v_add_f64 v[26:27], v[56:57], v[26:27]
	v_fma_f64 v[56:57], v[182:183], s[2:3], v[184:185]
	v_add_f64 v[24:25], v[56:57], v[24:25]
	v_fma_f64 v[56:57], v[188:189], s[2:3], -v[190:191]
	s_delay_alu instid0(VALU_DEP_1) | instskip(SKIP_1) | instid1(VALU_DEP_1)
	v_add_f64 v[26:27], v[56:57], v[26:27]
	v_fma_f64 v[56:57], v[145:146], s[8:9], -v[192:193]
	v_add_f64 v[56:57], v[56:57], v[70:71]
	s_delay_alu instid0(VALU_DEP_1) | instskip(SKIP_1) | instid1(VALU_DEP_1)
	v_add_f64 v[56:57], v[62:63], v[56:57]
	v_fma_f64 v[62:63], v[161:162], s[2:3], v[198:199]
	v_add_f64 v[58:59], v[62:63], v[58:59]
	v_fma_f64 v[62:63], v[167:168], s[16:17], -v[200:201]
	s_delay_alu instid0(VALU_DEP_1) | instskip(SKIP_1) | instid1(VALU_DEP_1)
	v_add_f64 v[56:57], v[62:63], v[56:57]
	v_fma_f64 v[62:63], v[176:177], s[16:17], v[202:203]
	v_add_f64 v[58:59], v[62:63], v[58:59]
	v_fma_f64 v[62:63], v[182:183], s[18:19], -v[204:205]
	;; [unrolled: 5-line block ×3, first 2 shown]
	s_delay_alu instid0(VALU_DEP_1) | instskip(SKIP_1) | instid1(VALU_DEP_2)
	v_add_f64 v[60:61], v[62:63], v[60:61]
	v_fma_f64 v[62:63], v[151:152], s[2:3], v[210:211]
	v_add_f64 v[60:61], v[64:65], v[60:61]
	s_delay_alu instid0(VALU_DEP_2) | instskip(SKIP_2) | instid1(VALU_DEP_2)
	v_add_f64 v[62:63], v[62:63], v[74:75]
	v_fma_f64 v[64:65], v[161:162], s[10:11], v[214:215]
	v_mul_f64 v[74:75], v[149:150], s[28:29]
	v_add_f64 v[62:63], v[64:65], v[62:63]
	v_fma_f64 v[64:65], v[167:168], s[18:19], -v[216:217]
	s_delay_alu instid0(VALU_DEP_1) | instskip(SKIP_1) | instid1(VALU_DEP_1)
	v_add_f64 v[60:61], v[64:65], v[60:61]
	v_fma_f64 v[64:65], v[176:177], s[18:19], v[218:219]
	v_add_f64 v[62:63], v[64:65], v[62:63]
	v_fma_f64 v[64:65], v[182:183], s[8:9], -v[220:221]
	s_delay_alu instid0(VALU_DEP_1) | instskip(SKIP_1) | instid1(VALU_DEP_1)
	v_add_f64 v[60:61], v[64:65], v[60:61]
	v_fma_f64 v[64:65], v[188:189], s[8:9], v[222:223]
	v_add_f64 v[62:63], v[64:65], v[62:63]
	v_fma_f64 v[64:65], v[145:146], s[16:17], -v[224:225]
	s_delay_alu instid0(VALU_DEP_1) | instskip(SKIP_1) | instid1(VALU_DEP_1)
	v_add_f64 v[64:65], v[64:65], v[76:77]
	v_mul_f64 v[76:77], v[149:150], s[34:35]
	v_fma_f64 v[66:67], v[151:152], s[16:17], v[76:77]
	v_fma_f64 v[76:77], v[151:152], s[16:17], -v[76:77]
	s_delay_alu instid0(VALU_DEP_2)
	v_add_f64 v[66:67], v[66:67], v[78:79]
	v_mul_f64 v[78:79], v[68:69], s[24:25]
	v_fma_f64 v[68:69], v[155:156], s[8:9], -v[82:83]
	v_fma_f64 v[82:83], v[155:156], s[8:9], v[82:83]
	v_add_f64 v[76:77], v[76:77], v[88:89]
	v_fma_f64 v[88:89], v[188:189], s[8:9], -v[222:223]
	v_fma_f64 v[70:71], v[155:156], s[18:19], -v[78:79]
	v_fma_f64 v[78:79], v[155:156], s[18:19], v[78:79]
	s_delay_alu instid0(VALU_DEP_2) | instskip(SKIP_1) | instid1(VALU_DEP_1)
	v_add_f64 v[64:65], v[70:71], v[64:65]
	v_fma_f64 v[70:71], v[161:162], s[18:19], v[226:227]
	v_add_f64 v[66:67], v[70:71], v[66:67]
	v_fma_f64 v[70:71], v[167:168], s[2:3], -v[228:229]
	s_delay_alu instid0(VALU_DEP_1) | instskip(SKIP_1) | instid1(VALU_DEP_1)
	v_add_f64 v[64:65], v[70:71], v[64:65]
	v_fma_f64 v[70:71], v[176:177], s[2:3], v[230:231]
	v_add_f64 v[66:67], v[70:71], v[66:67]
	v_fma_f64 v[70:71], v[182:183], s[10:11], -v[232:233]
	s_delay_alu instid0(VALU_DEP_1) | instskip(SKIP_1) | instid1(VALU_DEP_1)
	v_add_f64 v[64:65], v[70:71], v[64:65]
	v_fma_f64 v[70:71], v[188:189], s[10:11], v[234:235]
	v_add_f64 v[66:67], v[70:71], v[66:67]
	v_fma_f64 v[70:71], v[145:146], s[18:19], -v[72:73]
	v_fma_f64 v[72:73], v[145:146], s[18:19], v[72:73]
	s_delay_alu instid0(VALU_DEP_2) | instskip(SKIP_1) | instid1(VALU_DEP_3)
	v_add_f64 v[70:71], v[70:71], v[80:81]
	v_fma_f64 v[80:81], v[151:152], s[18:19], v[74:75]
	v_add_f64 v[72:73], v[72:73], v[135:136]
	v_fma_f64 v[74:75], v[151:152], s[18:19], -v[74:75]
	s_delay_alu instid0(VALU_DEP_4) | instskip(NEXT) | instid1(VALU_DEP_4)
	v_add_f64 v[68:69], v[68:69], v[70:71]
	v_add_f64 v[80:81], v[80:81], v[133:134]
	v_mul_f64 v[133:134], v[159:160], s[22:23]
	s_delay_alu instid0(VALU_DEP_4) | instskip(SKIP_1) | instid1(VALU_DEP_3)
	v_add_f64 v[74:75], v[74:75], v[141:142]
	v_add_f64 v[72:73], v[82:83], v[72:73]
	v_fma_f64 v[70:71], v[161:162], s[8:9], v[133:134]
	v_fma_f64 v[82:83], v[161:162], s[8:9], -v[133:134]
	v_fma_f64 v[133:134], v[176:177], s[8:9], v[178:179]
	s_delay_alu instid0(VALU_DEP_3) | instskip(SKIP_1) | instid1(VALU_DEP_4)
	v_add_f64 v[70:71], v[70:71], v[80:81]
	v_mul_f64 v[80:81], v[165:166], s[30:31]
	v_add_f64 v[74:75], v[82:83], v[74:75]
	v_mul_f64 v[165:166], v[186:187], s[20:21]
	s_delay_alu instid0(VALU_DEP_3) | instskip(SKIP_1) | instid1(VALU_DEP_3)
	v_fma_f64 v[149:150], v[167:168], s[10:11], -v[80:81]
	v_fma_f64 v[80:81], v[167:168], s[10:11], v[80:81]
	v_fma_f64 v[82:83], v[188:189], s[16:17], -v[165:166]
	s_delay_alu instid0(VALU_DEP_3) | instskip(SKIP_1) | instid1(VALU_DEP_4)
	v_add_f64 v[68:69], v[149:150], v[68:69]
	v_mul_f64 v[149:150], v[174:175], s[30:31]
	v_add_f64 v[72:73], v[80:81], v[72:73]
	s_delay_alu instid0(VALU_DEP_2) | instskip(SKIP_1) | instid1(VALU_DEP_2)
	v_fma_f64 v[159:160], v[176:177], s[10:11], v[149:150]
	v_fma_f64 v[80:81], v[176:177], s[10:11], -v[149:150]
	v_add_f64 v[70:71], v[159:160], v[70:71]
	v_mul_f64 v[159:160], v[180:181], s[20:21]
	s_delay_alu instid0(VALU_DEP_3) | instskip(NEXT) | instid1(VALU_DEP_2)
	v_add_f64 v[74:75], v[80:81], v[74:75]
	v_fma_f64 v[80:81], v[182:183], s[16:17], v[159:160]
	s_delay_alu instid0(VALU_DEP_2) | instskip(SKIP_2) | instid1(VALU_DEP_4)
	v_add_f64 v[74:75], v[82:83], v[74:75]
	v_fma_f64 v[82:83], v[188:189], s[10:11], -v[234:235]
	v_fma_f64 v[174:175], v[182:183], s[16:17], -v[159:160]
	v_add_f64 v[72:73], v[80:81], v[72:73]
	v_fma_f64 v[80:81], v[145:146], s[16:17], v[224:225]
	s_delay_alu instid0(VALU_DEP_3) | instskip(SKIP_1) | instid1(VALU_DEP_3)
	v_add_f64 v[68:69], v[174:175], v[68:69]
	v_fma_f64 v[174:175], v[188:189], s[16:17], v[165:166]
	v_add_f64 v[80:81], v[80:81], v[130:131]
	v_fma_f64 v[130:131], v[161:162], s[16:17], v[163:164]
	s_delay_alu instid0(VALU_DEP_3) | instskip(NEXT) | instid1(VALU_DEP_3)
	v_add_f64 v[70:71], v[174:175], v[70:71]
	v_add_f64 v[78:79], v[78:79], v[80:81]
	v_fma_f64 v[80:81], v[161:162], s[18:19], -v[226:227]
	s_delay_alu instid0(VALU_DEP_1) | instskip(SKIP_1) | instid1(VALU_DEP_1)
	v_add_f64 v[76:77], v[80:81], v[76:77]
	v_fma_f64 v[80:81], v[167:168], s[2:3], v[228:229]
	v_add_f64 v[78:79], v[80:81], v[78:79]
	v_fma_f64 v[80:81], v[176:177], s[2:3], -v[230:231]
	s_delay_alu instid0(VALU_DEP_1) | instskip(SKIP_1) | instid1(VALU_DEP_1)
	v_add_f64 v[80:81], v[80:81], v[76:77]
	v_fma_f64 v[76:77], v[182:183], s[10:11], v[232:233]
	v_add_f64 v[76:77], v[76:77], v[78:79]
	s_delay_alu instid0(VALU_DEP_3) | instskip(SKIP_2) | instid1(VALU_DEP_2)
	v_add_f64 v[78:79], v[82:83], v[80:81]
	v_fma_f64 v[80:81], v[145:146], s[2:3], v[208:209]
	v_fma_f64 v[82:83], v[151:152], s[2:3], -v[210:211]
	v_add_f64 v[80:81], v[80:81], v[128:129]
	s_delay_alu instid0(VALU_DEP_2) | instskip(SKIP_2) | instid1(VALU_DEP_2)
	v_add_f64 v[82:83], v[82:83], v[86:87]
	v_fma_f64 v[86:87], v[155:156], s[10:11], v[212:213]
	v_fma_f64 v[128:129], v[155:156], s[16:17], -v[157:158]
	v_add_f64 v[80:81], v[86:87], v[80:81]
	v_fma_f64 v[86:87], v[161:162], s[10:11], -v[214:215]
	s_delay_alu instid0(VALU_DEP_1) | instskip(SKIP_1) | instid1(VALU_DEP_1)
	v_add_f64 v[82:83], v[86:87], v[82:83]
	v_fma_f64 v[86:87], v[167:168], s[18:19], v[216:217]
	v_add_f64 v[80:81], v[86:87], v[80:81]
	v_fma_f64 v[86:87], v[176:177], s[18:19], -v[218:219]
	s_delay_alu instid0(VALU_DEP_1) | instskip(SKIP_1) | instid1(VALU_DEP_2)
	v_add_f64 v[82:83], v[86:87], v[82:83]
	v_fma_f64 v[86:87], v[182:183], s[8:9], v[220:221]
	v_add_f64 v[82:83], v[88:89], v[82:83]
	s_delay_alu instid0(VALU_DEP_2) | instskip(SKIP_2) | instid1(VALU_DEP_2)
	v_add_f64 v[80:81], v[86:87], v[80:81]
	v_fma_f64 v[86:87], v[145:146], s[8:9], v[192:193]
	v_fma_f64 v[88:89], v[151:152], s[8:9], -v[194:195]
	v_add_f64 v[86:87], v[86:87], v[126:127]
	s_delay_alu instid0(VALU_DEP_2) | instskip(SKIP_2) | instid1(VALU_DEP_2)
	v_add_f64 v[84:85], v[88:89], v[84:85]
	v_fma_f64 v[88:89], v[155:156], s[2:3], v[196:197]
	v_fma_f64 v[126:127], v[188:189], s[18:19], -v[206:207]
	v_add_f64 v[86:87], v[88:89], v[86:87]
	v_fma_f64 v[88:89], v[161:162], s[2:3], -v[198:199]
	s_delay_alu instid0(VALU_DEP_1) | instskip(SKIP_1) | instid1(VALU_DEP_1)
	v_add_f64 v[84:85], v[88:89], v[84:85]
	v_fma_f64 v[88:89], v[167:168], s[16:17], v[200:201]
	v_add_f64 v[86:87], v[88:89], v[86:87]
	v_fma_f64 v[88:89], v[176:177], s[16:17], -v[202:203]
	s_delay_alu instid0(VALU_DEP_1) | instskip(SKIP_1) | instid1(VALU_DEP_1)
	v_add_f64 v[88:89], v[88:89], v[84:85]
	v_fma_f64 v[84:85], v[182:183], s[18:19], v[204:205]
	v_add_f64 v[84:85], v[84:85], v[86:87]
	s_delay_alu instid0(VALU_DEP_3) | instskip(SKIP_2) | instid1(VALU_DEP_2)
	v_add_f64 v[86:87], v[126:127], v[88:89]
	v_fma_f64 v[88:89], v[145:146], s[10:11], -v[147:148]
	v_fma_f64 v[126:127], v[151:152], s[10:11], v[153:154]
	v_add_f64 v[88:89], v[88:89], v[90:91]
	s_delay_alu instid0(VALU_DEP_2) | instskip(SKIP_2) | instid1(VALU_DEP_4)
	v_add_f64 v[90:91], v[126:127], v[143:144]
	v_fma_f64 v[126:127], v[167:168], s[8:9], -v[172:173]
	v_add_lshl_u32 v172, v0, v45, 4
	v_add_f64 v[88:89], v[128:129], v[88:89]
	s_delay_alu instid0(VALU_DEP_4) | instskip(SKIP_2) | instid1(VALU_DEP_4)
	v_add_f64 v[90:91], v[130:131], v[90:91]
	v_fma_f64 v[128:129], v[182:183], s[2:3], -v[184:185]
	v_fma_f64 v[130:131], v[188:189], s[2:3], v[190:191]
	v_add_f64 v[88:89], v[126:127], v[88:89]
	s_delay_alu instid0(VALU_DEP_4) | instskip(NEXT) | instid1(VALU_DEP_2)
	v_add_f64 v[90:91], v[133:134], v[90:91]
	v_add_f64 v[88:89], v[128:129], v[88:89]
	s_delay_alu instid0(VALU_DEP_2)
	v_add_f64 v[90:91], v[130:131], v[90:91]
	ds_store_b128 v172, v[56:59] offset:416
	ds_store_b128 v172, v[60:63] offset:624
	ds_store_b128 v172, v[64:67] offset:832
	ds_store_b128 v172, v[68:71] offset:1040
	ds_store_b128 v172, v[72:75] offset:1248
	ds_store_b128 v172, v[76:79] offset:1456
	ds_store_b128 v172, v[80:83] offset:1664
	ds_store_b128 v172, v[84:87] offset:1872
	ds_store_b128 v172, v[24:27] offset:2080
	ds_store_b128 v172, v[88:91] offset:208
	ds_store_b128 v172, v[92:95]
	v_mad_u64_u32 v[80:81], null, 0xa0, v255, s[0:1]
	s_waitcnt lgkmcnt(0)
	s_barrier
	buffer_gl0_inv
	ds_load_b128 v[56:59], v169 offset:2288
	ds_load_b128 v[92:95], v169
	s_clause 0x1
	global_load_b128 v[24:27], v[80:81], off offset:2080
	global_load_b128 v[44:47], v[80:81], off offset:2096
	s_waitcnt vmcnt(1) lgkmcnt(1)
	v_mul_f64 v[60:61], v[58:59], v[26:27]
	s_delay_alu instid0(VALU_DEP_1) | instskip(SKIP_2) | instid1(VALU_DEP_2)
	v_fma_f64 v[104:105], v[56:57], v[24:25], -v[60:61]
	v_mul_f64 v[56:57], v[56:57], v[26:27]
	s_waitcnt lgkmcnt(0)
	v_add_f64 v[165:166], v[92:93], v[104:105]
	s_delay_alu instid0(VALU_DEP_2)
	v_fma_f64 v[106:107], v[58:59], v[24:25], v[56:57]
	s_clause 0x1
	global_load_b128 v[60:63], v[80:81], off offset:2224
	global_load_b128 v[56:59], v[80:81], off offset:2208
	ds_load_b128 v[64:67], v169 offset:22880
	v_add_f64 v[167:168], v[94:95], v[106:107]
	s_waitcnt vmcnt(1) lgkmcnt(0)
	v_mul_f64 v[68:69], v[64:65], v[62:63]
	s_delay_alu instid0(VALU_DEP_1) | instskip(SKIP_1) | instid1(VALU_DEP_2)
	v_fma_f64 v[90:91], v[66:67], v[60:61], v[68:69]
	v_mul_f64 v[66:67], v[66:67], v[62:63]
	v_add_f64 v[130:131], v[106:107], v[90:91]
	s_delay_alu instid0(VALU_DEP_2)
	v_fma_f64 v[88:89], v[64:65], v[60:61], -v[66:67]
	ds_load_b128 v[64:67], v169 offset:4576
	ds_load_b128 v[72:75], v169 offset:6864
	s_waitcnt lgkmcnt(1)
	v_mul_f64 v[68:69], v[66:67], v[46:47]
	v_add_f64 v[110:111], v[104:105], v[88:89]
	s_delay_alu instid0(VALU_DEP_2) | instskip(SKIP_1) | instid1(VALU_DEP_1)
	v_fma_f64 v[137:138], v[64:65], v[44:45], -v[68:69]
	v_mul_f64 v[64:65], v[64:65], v[46:47]
	v_fma_f64 v[139:140], v[66:67], v[44:45], v[64:65]
	ds_load_b128 v[64:67], v169 offset:20592
	ds_load_b128 v[82:85], v169 offset:18304
	s_waitcnt vmcnt(0) lgkmcnt(1)
	v_mul_f64 v[68:69], v[64:65], v[58:59]
	s_delay_alu instid0(VALU_DEP_1) | instskip(SKIP_1) | instid1(VALU_DEP_2)
	v_fma_f64 v[133:134], v[66:67], v[56:57], v[68:69]
	v_mul_f64 v[66:67], v[66:67], v[58:59]
	v_add_f64 v[193:194], v[139:140], v[133:134]
	s_delay_alu instid0(VALU_DEP_2)
	v_fma_f64 v[135:136], v[64:65], v[56:57], -v[66:67]
	s_clause 0x1
	global_load_b128 v[68:71], v[80:81], off offset:2112
	global_load_b128 v[64:67], v[80:81], off offset:2128
	v_add_f64 v[185:186], v[139:140], -v[133:134]
	v_add_f64 v[191:192], v[137:138], -v[135:136]
	v_add_f64 v[187:188], v[137:138], v[135:136]
	s_delay_alu instid0(VALU_DEP_3) | instskip(SKIP_1) | instid1(VALU_DEP_4)
	v_mul_f64 v[189:190], v[185:186], s[36:37]
	v_mul_f64 v[231:232], v[185:186], s[22:23]
	;; [unrolled: 1-line block ×5, first 2 shown]
	s_waitcnt vmcnt(1)
	v_mul_f64 v[76:77], v[74:75], v[70:71]
	s_delay_alu instid0(VALU_DEP_1) | instskip(SKIP_1) | instid1(VALU_DEP_1)
	v_fma_f64 v[145:146], v[72:73], v[68:69], -v[76:77]
	v_mul_f64 v[72:73], v[72:73], v[70:71]
	v_fma_f64 v[147:148], v[74:75], v[68:69], v[72:73]
	s_clause 0x1
	global_load_b128 v[76:79], v[80:81], off offset:2192
	global_load_b128 v[72:75], v[80:81], off offset:2176
	s_waitcnt vmcnt(1) lgkmcnt(0)
	v_mul_f64 v[86:87], v[82:83], v[78:79]
	s_delay_alu instid0(VALU_DEP_1) | instskip(SKIP_1) | instid1(VALU_DEP_2)
	v_fma_f64 v[141:142], v[84:85], v[76:77], v[86:87]
	v_mul_f64 v[84:85], v[84:85], v[78:79]
	v_add_f64 v[203:204], v[147:148], v[141:142]
	s_delay_alu instid0(VALU_DEP_2)
	v_fma_f64 v[143:144], v[82:83], v[76:77], -v[84:85]
	ds_load_b128 v[82:85], v169 offset:9152
	ds_load_b128 v[96:99], v169 offset:11440
	s_waitcnt lgkmcnt(1)
	v_mul_f64 v[86:87], v[84:85], v[66:67]
	v_add_f64 v[197:198], v[145:146], v[143:144]
	v_add_f64 v[201:202], v[145:146], -v[143:144]
	s_delay_alu instid0(VALU_DEP_3) | instskip(SKIP_1) | instid1(VALU_DEP_3)
	v_fma_f64 v[149:150], v[82:83], v[64:65], -v[86:87]
	v_mul_f64 v[82:83], v[82:83], v[66:67]
	v_mul_f64 v[205:206], v[201:202], s[20:21]
	;; [unrolled: 1-line block ×5, first 2 shown]
	v_fma_f64 v[151:152], v[84:85], v[64:65], v[82:83]
	s_clause 0x1
	global_load_b128 v[84:87], v[80:81], off offset:2144
	global_load_b128 v[80:83], v[80:81], off offset:2160
	v_fma_f64 v[6:7], v[203:204], s[18:19], v[4:5]
	v_fma_f64 v[4:5], v[203:204], s[18:19], -v[4:5]
	s_waitcnt vmcnt(1) lgkmcnt(0)
	v_mul_f64 v[100:101], v[98:99], v[86:87]
	s_delay_alu instid0(VALU_DEP_1) | instskip(SKIP_1) | instid1(VALU_DEP_1)
	v_fma_f64 v[153:154], v[96:97], v[84:85], -v[100:101]
	v_mul_f64 v[96:97], v[96:97], v[86:87]
	v_fma_f64 v[155:156], v[98:99], v[84:85], v[96:97]
	ds_load_b128 v[96:99], v169 offset:13728
	ds_load_b128 v[100:103], v169 offset:16016
	s_waitcnt vmcnt(0) lgkmcnt(1)
	v_mul_f64 v[108:109], v[98:99], v[82:83]
	s_delay_alu instid0(VALU_DEP_1) | instskip(SKIP_1) | instid1(VALU_DEP_2)
	v_fma_f64 v[157:158], v[96:97], v[80:81], -v[108:109]
	v_mul_f64 v[96:97], v[96:97], v[82:83]
	v_add_f64 v[221:222], v[153:154], v[157:158]
	s_delay_alu instid0(VALU_DEP_2) | instskip(SKIP_3) | instid1(VALU_DEP_3)
	v_fma_f64 v[159:160], v[98:99], v[80:81], v[96:97]
	s_waitcnt lgkmcnt(0)
	v_mul_f64 v[96:97], v[102:103], v[74:75]
	v_add_f64 v[225:226], v[153:154], -v[157:158]
	v_add_f64 v[219:220], v[155:156], -v[159:160]
	s_delay_alu instid0(VALU_DEP_3)
	v_fma_f64 v[161:162], v[100:101], v[72:73], -v[96:97]
	v_mul_f64 v[96:97], v[100:101], v[74:75]
	v_add_f64 v[227:228], v[155:156], v[159:160]
	v_mul_f64 v[229:230], v[225:226], s[26:27]
	v_mul_f64 v[245:246], v[225:226], s[28:29]
	;; [unrolled: 1-line block ×4, first 2 shown]
	v_add_f64 v[209:210], v[149:150], v[161:162]
	v_fma_f64 v[163:164], v[102:103], v[72:73], v[96:97]
	v_add_f64 v[96:97], v[106:107], -v[90:91]
	v_add_f64 v[213:214], v[149:150], -v[161:162]
	v_mul_f64 v[243:244], v[219:220], s[28:29]
	v_mul_f64 v[170:171], v[219:220], s[22:23]
	v_fma_f64 v[2:3], v[227:228], s[8:9], v[0:1]
	v_fma_f64 v[0:1], v[227:228], s[8:9], -v[0:1]
	v_add_f64 v[207:208], v[151:152], -v[163:164]
	v_mul_f64 v[98:99], v[96:97], s[24:25]
	v_mul_f64 v[100:101], v[96:97], s[36:37]
	v_mul_f64 v[102:103], v[96:97], s[20:21]
	v_mul_f64 v[108:109], v[96:97], s[22:23]
	v_mul_f64 v[96:97], v[96:97], s[26:27]
	v_add_f64 v[215:216], v[151:152], v[163:164]
	v_mul_f64 v[217:218], v[213:214], s[22:23]
	v_mul_f64 v[241:242], v[213:214], s[34:35]
	;; [unrolled: 1-line block ×5, first 2 shown]
	v_fma_f64 v[112:113], v[110:111], s[18:19], -v[98:99]
	v_fma_f64 v[98:99], v[110:111], s[18:19], v[98:99]
	v_fma_f64 v[114:115], v[110:111], s[10:11], -v[100:101]
	v_fma_f64 v[100:101], v[110:111], s[10:11], v[100:101]
	;; [unrolled: 2-line block ×5, first 2 shown]
	v_add_f64 v[110:111], v[104:105], -v[88:89]
	v_mul_f64 v[239:240], v[207:208], s[34:35]
	v_mul_f64 v[251:252], v[207:208], s[24:25]
	v_mul_f64 v[8:9], v[207:208], s[26:27]
	v_fma_f64 v[14:15], v[215:216], s[2:3], v[12:13]
	v_add_f64 v[104:105], v[92:93], v[112:113]
	v_add_f64 v[98:99], v[92:93], v[98:99]
	;; [unrolled: 1-line block ×5, first 2 shown]
	v_mul_f64 v[122:123], v[110:111], s[24:25]
	v_mul_f64 v[124:125], v[110:111], s[36:37]
	;; [unrolled: 1-line block ×5, first 2 shown]
	v_fma_f64 v[10:11], v[209:210], s[2:3], -v[8:9]
	v_fma_f64 v[173:174], v[130:131], s[18:19], v[122:123]
	v_fma_f64 v[122:123], v[130:131], s[18:19], -v[122:123]
	v_fma_f64 v[175:176], v[130:131], s[10:11], v[124:125]
	;; [unrolled: 2-line block ×5, first 2 shown]
	v_fma_f64 v[110:111], v[130:131], s[2:3], -v[110:111]
	v_add_f64 v[130:131], v[92:93], v[96:97]
	v_add_f64 v[106:107], v[94:95], v[173:174]
	;; [unrolled: 1-line block ×13, first 2 shown]
	v_fma_f64 v[94:95], v[193:194], s[10:11], -v[195:196]
	v_add_f64 v[177:178], v[92:93], v[102:103]
	v_add_f64 v[126:127], v[92:93], v[108:109]
	v_fma_f64 v[92:93], v[187:188], s[10:11], v[189:190]
	s_delay_alu instid0(VALU_DEP_4) | instskip(SKIP_1) | instid1(VALU_DEP_3)
	v_add_f64 v[94:95], v[94:95], v[112:113]
	v_add_f64 v[112:113], v[147:148], -v[141:142]
	v_add_f64 v[92:93], v[92:93], v[98:99]
	s_delay_alu instid0(VALU_DEP_2) | instskip(SKIP_1) | instid1(VALU_DEP_2)
	v_mul_f64 v[199:200], v[112:113], s[20:21]
	v_mul_f64 v[235:236], v[112:113], s[38:39]
	v_fma_f64 v[96:97], v[197:198], s[16:17], v[199:200]
	s_delay_alu instid0(VALU_DEP_2) | instskip(NEXT) | instid1(VALU_DEP_2)
	v_fma_f64 v[102:103], v[197:198], s[2:3], -v[235:236]
	v_add_f64 v[92:93], v[96:97], v[92:93]
	v_fma_f64 v[96:97], v[203:204], s[16:17], -v[205:206]
	s_delay_alu instid0(VALU_DEP_1) | instskip(SKIP_1) | instid1(VALU_DEP_1)
	v_add_f64 v[94:95], v[96:97], v[94:95]
	v_fma_f64 v[96:97], v[209:210], s[8:9], v[211:212]
	v_add_f64 v[92:93], v[96:97], v[92:93]
	v_fma_f64 v[96:97], v[215:216], s[8:9], -v[217:218]
	s_delay_alu instid0(VALU_DEP_1) | instskip(SKIP_1) | instid1(VALU_DEP_1)
	v_add_f64 v[94:95], v[96:97], v[94:95]
	v_fma_f64 v[96:97], v[221:222], s[2:3], v[223:224]
	v_add_f64 v[96:97], v[96:97], v[92:93]
	v_fma_f64 v[92:93], v[227:228], s[2:3], -v[229:230]
	s_delay_alu instid0(VALU_DEP_1) | instskip(SKIP_2) | instid1(VALU_DEP_2)
	v_add_f64 v[98:99], v[92:93], v[94:95]
	v_fma_f64 v[92:93], v[187:188], s[8:9], -v[231:232]
	v_fma_f64 v[94:95], v[193:194], s[8:9], v[233:234]
	v_add_f64 v[92:93], v[92:93], v[114:115]
	s_delay_alu instid0(VALU_DEP_2) | instskip(SKIP_1) | instid1(VALU_DEP_3)
	v_add_f64 v[94:95], v[94:95], v[122:123]
	v_mul_f64 v[122:123], v[185:186], s[38:39]
	v_add_f64 v[92:93], v[102:103], v[92:93]
	v_fma_f64 v[102:103], v[203:204], s[2:3], v[237:238]
	s_delay_alu instid0(VALU_DEP_1) | instskip(SKIP_1) | instid1(VALU_DEP_1)
	v_add_f64 v[94:95], v[102:103], v[94:95]
	v_fma_f64 v[102:103], v[209:210], s[16:17], -v[239:240]
	v_add_f64 v[92:93], v[102:103], v[92:93]
	v_fma_f64 v[102:103], v[215:216], s[16:17], v[241:242]
	s_delay_alu instid0(VALU_DEP_1) | instskip(SKIP_1) | instid1(VALU_DEP_1)
	v_add_f64 v[94:95], v[102:103], v[94:95]
	v_fma_f64 v[102:103], v[221:222], s[18:19], -v[243:244]
	;; [unrolled: 5-line block ×3, first 2 shown]
	v_add_f64 v[100:101], v[102:103], v[100:101]
	v_fma_f64 v[102:103], v[193:194], s[2:3], v[247:248]
	s_delay_alu instid0(VALU_DEP_1) | instskip(SKIP_1) | instid1(VALU_DEP_1)
	v_add_f64 v[102:103], v[102:103], v[116:117]
	v_mul_f64 v[116:117], v[112:113], s[30:31]
	v_fma_f64 v[108:109], v[197:198], s[10:11], -v[116:117]
	s_delay_alu instid0(VALU_DEP_1) | instskip(SKIP_1) | instid1(VALU_DEP_1)
	v_add_f64 v[100:101], v[108:109], v[100:101]
	v_fma_f64 v[108:109], v[203:204], s[10:11], v[249:250]
	v_add_f64 v[102:103], v[108:109], v[102:103]
	v_fma_f64 v[108:109], v[209:210], s[18:19], -v[251:252]
	s_delay_alu instid0(VALU_DEP_1) | instskip(SKIP_1) | instid1(VALU_DEP_1)
	v_add_f64 v[100:101], v[108:109], v[100:101]
	v_fma_f64 v[108:109], v[215:216], s[18:19], v[253:254]
	v_add_f64 v[102:103], v[108:109], v[102:103]
	v_fma_f64 v[108:109], v[221:222], s[8:9], -v[170:171]
	s_delay_alu instid0(VALU_DEP_2) | instskip(SKIP_1) | instid1(VALU_DEP_3)
	v_add_f64 v[102:103], v[2:3], v[102:103]
	v_mul_f64 v[2:3], v[185:186], s[34:35]
	v_add_f64 v[100:101], v[108:109], v[100:101]
	s_delay_alu instid0(VALU_DEP_2) | instskip(SKIP_1) | instid1(VALU_DEP_2)
	v_fma_f64 v[108:109], v[187:188], s[16:17], -v[2:3]
	v_fma_f64 v[2:3], v[187:188], s[16:17], v[2:3]
	v_add_f64 v[108:109], v[108:109], v[118:119]
	v_mul_f64 v[118:119], v[191:192], s[34:35]
	s_delay_alu instid0(VALU_DEP_3) | instskip(NEXT) | instid1(VALU_DEP_2)
	v_add_f64 v[2:3], v[2:3], v[126:127]
	v_fma_f64 v[110:111], v[193:194], s[16:17], v[118:119]
	s_delay_alu instid0(VALU_DEP_1) | instskip(SKIP_1) | instid1(VALU_DEP_2)
	v_add_f64 v[110:111], v[110:111], v[124:125]
	v_mul_f64 v[124:125], v[112:113], s[24:25]
	v_add_f64 v[6:7], v[6:7], v[110:111]
	s_delay_alu instid0(VALU_DEP_2) | instskip(NEXT) | instid1(VALU_DEP_2)
	v_fma_f64 v[114:115], v[197:198], s[18:19], -v[124:125]
	v_add_f64 v[6:7], v[14:15], v[6:7]
	s_delay_alu instid0(VALU_DEP_2) | instskip(SKIP_1) | instid1(VALU_DEP_2)
	v_add_f64 v[108:109], v[114:115], v[108:109]
	v_mul_f64 v[14:15], v[219:220], s[30:31]
	v_add_f64 v[10:11], v[10:11], v[108:109]
	s_delay_alu instid0(VALU_DEP_2) | instskip(NEXT) | instid1(VALU_DEP_1)
	v_fma_f64 v[108:109], v[221:222], s[10:11], -v[14:15]
	v_add_f64 v[108:109], v[108:109], v[10:11]
	v_mul_f64 v[10:11], v[225:226], s[30:31]
	s_delay_alu instid0(VALU_DEP_1) | instskip(NEXT) | instid1(VALU_DEP_1)
	v_fma_f64 v[110:111], v[227:228], s[10:11], v[10:11]
	v_add_f64 v[110:111], v[110:111], v[6:7]
	v_mul_f64 v[6:7], v[185:186], s[28:29]
	s_delay_alu instid0(VALU_DEP_1) | instskip(SKIP_1) | instid1(VALU_DEP_2)
	v_fma_f64 v[114:115], v[187:188], s[18:19], -v[6:7]
	v_fma_f64 v[6:7], v[187:188], s[18:19], v[6:7]
	v_add_f64 v[114:115], v[114:115], v[120:121]
	v_mul_f64 v[120:121], v[191:192], s[28:29]
	v_mul_f64 v[191:192], v[201:202], s[22:23]
	s_delay_alu instid0(VALU_DEP_4) | instskip(NEXT) | instid1(VALU_DEP_3)
	v_add_f64 v[6:7], v[6:7], v[130:131]
	v_fma_f64 v[185:186], v[193:194], s[18:19], v[120:121]
	v_fma_f64 v[120:121], v[193:194], s[18:19], -v[120:121]
	s_delay_alu instid0(VALU_DEP_2) | instskip(SKIP_1) | instid1(VALU_DEP_3)
	v_add_f64 v[128:129], v[185:186], v[128:129]
	v_mul_f64 v[185:186], v[112:113], s[22:23]
	v_add_f64 v[120:121], v[120:121], v[181:182]
	s_delay_alu instid0(VALU_DEP_2) | instskip(SKIP_1) | instid1(VALU_DEP_2)
	v_fma_f64 v[112:113], v[197:198], s[8:9], -v[185:186]
	v_fma_f64 v[130:131], v[197:198], s[8:9], v[185:186]
	v_add_f64 v[112:113], v[112:113], v[114:115]
	v_fma_f64 v[114:115], v[203:204], s[8:9], v[191:192]
	s_delay_alu instid0(VALU_DEP_3) | instskip(SKIP_1) | instid1(VALU_DEP_3)
	v_add_f64 v[6:7], v[130:131], v[6:7]
	v_fma_f64 v[130:131], v[203:204], s[8:9], -v[191:192]
	v_add_f64 v[114:115], v[114:115], v[128:129]
	v_mul_f64 v[128:129], v[207:208], s[30:31]
	s_delay_alu instid0(VALU_DEP_3) | instskip(NEXT) | instid1(VALU_DEP_2)
	v_add_f64 v[120:121], v[130:131], v[120:121]
	v_fma_f64 v[201:202], v[209:210], s[10:11], -v[128:129]
	v_fma_f64 v[128:129], v[209:210], s[10:11], v[128:129]
	s_delay_alu instid0(VALU_DEP_2) | instskip(SKIP_1) | instid1(VALU_DEP_3)
	v_add_f64 v[112:113], v[201:202], v[112:113]
	v_mul_f64 v[201:202], v[213:214], s[30:31]
	v_add_f64 v[6:7], v[128:129], v[6:7]
	v_mul_f64 v[213:214], v[225:226], s[20:21]
	s_delay_alu instid0(VALU_DEP_3) | instskip(SKIP_1) | instid1(VALU_DEP_3)
	v_fma_f64 v[207:208], v[215:216], s[10:11], v[201:202]
	v_fma_f64 v[128:129], v[215:216], s[10:11], -v[201:202]
	v_fma_f64 v[130:131], v[227:228], s[16:17], -v[213:214]
	s_delay_alu instid0(VALU_DEP_3) | instskip(SKIP_1) | instid1(VALU_DEP_4)
	v_add_f64 v[114:115], v[207:208], v[114:115]
	v_mul_f64 v[207:208], v[219:220], s[20:21]
	v_add_f64 v[120:121], v[128:129], v[120:121]
	s_delay_alu instid0(VALU_DEP_2) | instskip(NEXT) | instid1(VALU_DEP_2)
	v_fma_f64 v[128:129], v[221:222], s[16:17], v[207:208]
	v_add_f64 v[130:131], v[130:131], v[120:121]
	v_fma_f64 v[219:220], v[221:222], s[16:17], -v[207:208]
	s_delay_alu instid0(VALU_DEP_3) | instskip(SKIP_2) | instid1(VALU_DEP_4)
	v_add_f64 v[128:129], v[128:129], v[6:7]
	v_fma_f64 v[6:7], v[193:194], s[16:17], -v[118:119]
	v_fma_f64 v[118:119], v[197:198], s[18:19], v[124:125]
	v_add_f64 v[112:113], v[219:220], v[112:113]
	v_fma_f64 v[219:220], v[227:228], s[16:17], v[213:214]
	s_delay_alu instid0(VALU_DEP_4) | instskip(NEXT) | instid1(VALU_DEP_4)
	v_add_f64 v[6:7], v[6:7], v[179:180]
	v_add_f64 v[2:3], v[118:119], v[2:3]
	s_delay_alu instid0(VALU_DEP_3) | instskip(NEXT) | instid1(VALU_DEP_3)
	v_add_f64 v[114:115], v[219:220], v[114:115]
	v_add_f64 v[4:5], v[4:5], v[6:7]
	v_fma_f64 v[6:7], v[209:210], s[2:3], v[8:9]
	v_fma_f64 v[8:9], v[227:228], s[10:11], -v[10:11]
	v_fma_f64 v[10:11], v[215:216], s[8:9], v[217:218]
	s_delay_alu instid0(VALU_DEP_3) | instskip(SKIP_1) | instid1(VALU_DEP_1)
	v_add_f64 v[2:3], v[6:7], v[2:3]
	v_fma_f64 v[6:7], v[215:216], s[2:3], -v[12:13]
	v_add_f64 v[4:5], v[6:7], v[4:5]
	v_fma_f64 v[6:7], v[221:222], s[10:11], v[14:15]
	s_delay_alu instid0(VALU_DEP_2) | instskip(NEXT) | instid1(VALU_DEP_2)
	v_add_f64 v[126:127], v[8:9], v[4:5]
	v_add_f64 v[124:125], v[6:7], v[2:3]
	v_fma_f64 v[2:3], v[187:188], s[2:3], v[122:123]
	v_fma_f64 v[4:5], v[193:194], s[2:3], -v[247:248]
	v_fma_f64 v[6:7], v[197:198], s[10:11], v[116:117]
	v_fma_f64 v[8:9], v[209:210], s[8:9], -v[211:212]
	s_delay_alu instid0(VALU_DEP_4) | instskip(NEXT) | instid1(VALU_DEP_4)
	v_add_f64 v[2:3], v[2:3], v[177:178]
	v_add_f64 v[4:5], v[4:5], v[183:184]
	s_delay_alu instid0(VALU_DEP_2) | instskip(SKIP_1) | instid1(VALU_DEP_1)
	v_add_f64 v[2:3], v[6:7], v[2:3]
	v_fma_f64 v[6:7], v[203:204], s[10:11], -v[249:250]
	v_add_f64 v[4:5], v[6:7], v[4:5]
	v_fma_f64 v[6:7], v[209:210], s[18:19], v[251:252]
	s_delay_alu instid0(VALU_DEP_1) | instskip(SKIP_1) | instid1(VALU_DEP_1)
	v_add_f64 v[2:3], v[6:7], v[2:3]
	v_fma_f64 v[6:7], v[215:216], s[18:19], -v[253:254]
	v_add_f64 v[4:5], v[6:7], v[4:5]
	v_fma_f64 v[6:7], v[221:222], s[8:9], v[170:171]
	s_delay_alu instid0(VALU_DEP_2) | instskip(SKIP_1) | instid1(VALU_DEP_3)
	v_add_f64 v[122:123], v[0:1], v[4:5]
	v_fma_f64 v[0:1], v[187:188], s[8:9], v[231:232]
	v_add_f64 v[120:121], v[6:7], v[2:3]
	v_fma_f64 v[2:3], v[193:194], s[8:9], -v[233:234]
	v_fma_f64 v[4:5], v[197:198], s[2:3], v[235:236]
	v_fma_f64 v[6:7], v[227:228], s[18:19], -v[245:246]
	v_add_f64 v[0:1], v[0:1], v[173:174]
	s_delay_alu instid0(VALU_DEP_4) | instskip(NEXT) | instid1(VALU_DEP_2)
	v_add_f64 v[2:3], v[2:3], v[175:176]
	v_add_f64 v[0:1], v[4:5], v[0:1]
	v_fma_f64 v[4:5], v[203:204], s[2:3], -v[237:238]
	s_delay_alu instid0(VALU_DEP_1) | instskip(SKIP_1) | instid1(VALU_DEP_1)
	v_add_f64 v[2:3], v[4:5], v[2:3]
	v_fma_f64 v[4:5], v[209:210], s[16:17], v[239:240]
	v_add_f64 v[0:1], v[4:5], v[0:1]
	v_fma_f64 v[4:5], v[215:216], s[16:17], -v[241:242]
	s_delay_alu instid0(VALU_DEP_1) | instskip(SKIP_1) | instid1(VALU_DEP_2)
	v_add_f64 v[2:3], v[4:5], v[2:3]
	v_fma_f64 v[4:5], v[221:222], s[18:19], v[243:244]
	v_add_f64 v[118:119], v[6:7], v[2:3]
	s_delay_alu instid0(VALU_DEP_2) | instskip(SKIP_4) | instid1(VALU_DEP_4)
	v_add_f64 v[116:117], v[4:5], v[0:1]
	v_fma_f64 v[0:1], v[187:188], s[10:11], -v[189:190]
	v_fma_f64 v[2:3], v[193:194], s[10:11], v[195:196]
	v_fma_f64 v[4:5], v[197:198], s[16:17], -v[199:200]
	v_fma_f64 v[6:7], v[203:204], s[16:17], v[205:206]
	v_add_f64 v[0:1], v[0:1], v[104:105]
	s_delay_alu instid0(VALU_DEP_4) | instskip(NEXT) | instid1(VALU_DEP_2)
	v_add_f64 v[2:3], v[2:3], v[106:107]
	v_add_f64 v[0:1], v[4:5], v[0:1]
	s_delay_alu instid0(VALU_DEP_2) | instskip(SKIP_2) | instid1(VALU_DEP_4)
	v_add_f64 v[2:3], v[6:7], v[2:3]
	v_fma_f64 v[4:5], v[221:222], s[2:3], -v[223:224]
	v_fma_f64 v[6:7], v[227:228], s[2:3], v[229:230]
	v_add_f64 v[0:1], v[8:9], v[0:1]
	s_delay_alu instid0(VALU_DEP_4) | instskip(NEXT) | instid1(VALU_DEP_2)
	v_add_f64 v[2:3], v[10:11], v[2:3]
	v_add_f64 v[104:105], v[4:5], v[0:1]
	s_delay_alu instid0(VALU_DEP_2) | instskip(SKIP_2) | instid1(VALU_DEP_2)
	v_add_f64 v[106:107], v[6:7], v[2:3]
	v_add_f64 v[0:1], v[165:166], v[137:138]
	v_add_f64 v[2:3], v[167:168], v[139:140]
	v_add_f64 v[0:1], v[0:1], v[145:146]
	s_delay_alu instid0(VALU_DEP_2) | instskip(NEXT) | instid1(VALU_DEP_2)
	v_add_f64 v[2:3], v[2:3], v[147:148]
	v_add_f64 v[0:1], v[0:1], v[149:150]
	s_delay_alu instid0(VALU_DEP_2) | instskip(NEXT) | instid1(VALU_DEP_2)
	v_add_f64 v[2:3], v[2:3], v[151:152]
	v_add_f64 v[0:1], v[0:1], v[153:154]
	;; [unrolled: 3-line block ×7, first 2 shown]
	s_delay_alu instid0(VALU_DEP_2)
	v_add_f64 v[90:91], v[2:3], v[90:91]
	ds_store_b128 v169, v[92:95] offset:4576
	ds_store_b128 v169, v[100:103] offset:6864
	;; [unrolled: 1-line block ×10, first 2 shown]
	ds_store_b128 v169, v[88:91]
	s_waitcnt lgkmcnt(0)
	s_barrier
	buffer_gl0_inv
	s_and_saveexec_b32 s1, vcc_lo
	s_cbranch_execz .LBB0_9
; %bb.8:
	v_add_co_u32 v133, s0, s14, v169
	s_delay_alu instid0(VALU_DEP_1) | instskip(NEXT) | instid1(VALU_DEP_2)
	v_add_co_ci_u32_e64 v134, null, s15, 0, s0
	v_add_co_u32 v0, s0, 0x6000, v133
	s_delay_alu instid0(VALU_DEP_1) | instskip(SKIP_2) | instid1(VALU_DEP_1)
	v_add_co_ci_u32_e64 v1, s0, 0, v134, s0
	global_load_b128 v[135:138], v[0:1], off offset:592
	v_add_co_u32 v0, s0, 0x6250, v133
	v_add_co_ci_u32_e64 v1, s0, 0, v134, s0
	s_clause 0x1
	global_load_b128 v[139:142], v[0:1], off offset:1936
	global_load_b128 v[143:146], v[0:1], off offset:3872
	v_add_co_u32 v0, s0, 0x7000, v133
	s_delay_alu instid0(VALU_DEP_1) | instskip(SKIP_2) | instid1(VALU_DEP_1)
	v_add_co_ci_u32_e64 v1, s0, 0, v134, s0
	global_load_b128 v[147:150], v[0:1], off offset:2304
	v_add_co_u32 v0, s0, 0x8000, v133
	v_add_co_ci_u32_e64 v1, s0, 0, v134, s0
	s_clause 0x1
	global_load_b128 v[151:154], v[0:1], off offset:144
	global_load_b128 v[155:158], v[0:1], off offset:2080
	ds_load_b128 v[159:162], v169
	ds_load_b128 v[163:166], v169 offset:1936
	s_waitcnt vmcnt(5) lgkmcnt(1)
	v_mul_f64 v[2:3], v[161:162], v[137:138]
	v_mul_f64 v[4:5], v[159:160], v[137:138]
	s_delay_alu instid0(VALU_DEP_2) | instskip(NEXT) | instid1(VALU_DEP_2)
	v_fma_f64 v[159:160], v[159:160], v[135:136], -v[2:3]
	v_fma_f64 v[161:162], v[161:162], v[135:136], v[4:5]
	s_waitcnt vmcnt(4) lgkmcnt(0)
	v_mul_f64 v[2:3], v[165:166], v[141:142]
	v_mul_f64 v[4:5], v[163:164], v[141:142]
	ds_load_b128 v[135:138], v169 offset:3872
	v_fma_f64 v[163:164], v[163:164], v[139:140], -v[2:3]
	v_fma_f64 v[165:166], v[165:166], v[139:140], v[4:5]
	ds_load_b128 v[139:142], v169 offset:5808
	s_waitcnt vmcnt(3) lgkmcnt(1)
	v_mul_f64 v[2:3], v[137:138], v[145:146]
	v_mul_f64 v[4:5], v[135:136], v[145:146]
	s_delay_alu instid0(VALU_DEP_2) | instskip(NEXT) | instid1(VALU_DEP_2)
	v_fma_f64 v[135:136], v[135:136], v[143:144], -v[2:3]
	v_fma_f64 v[137:138], v[137:138], v[143:144], v[4:5]
	s_waitcnt vmcnt(2) lgkmcnt(0)
	v_mul_f64 v[2:3], v[141:142], v[149:150]
	v_mul_f64 v[4:5], v[139:140], v[149:150]
	ds_load_b128 v[143:146], v169 offset:7744
	v_fma_f64 v[139:140], v[139:140], v[147:148], -v[2:3]
	v_fma_f64 v[141:142], v[141:142], v[147:148], v[4:5]
	ds_load_b128 v[147:150], v169 offset:9680
	s_waitcnt vmcnt(1) lgkmcnt(1)
	v_mul_f64 v[2:3], v[145:146], v[153:154]
	v_mul_f64 v[4:5], v[143:144], v[153:154]
	s_delay_alu instid0(VALU_DEP_2) | instskip(NEXT) | instid1(VALU_DEP_2)
	v_fma_f64 v[143:144], v[143:144], v[151:152], -v[2:3]
	v_fma_f64 v[145:146], v[145:146], v[151:152], v[4:5]
	global_load_b128 v[151:154], v[0:1], off offset:4016
	s_waitcnt vmcnt(1) lgkmcnt(0)
	v_mul_f64 v[0:1], v[149:150], v[157:158]
	v_mul_f64 v[2:3], v[147:148], v[157:158]
	v_add_co_u32 v4, s0, 0x9000, v133
	s_delay_alu instid0(VALU_DEP_1) | instskip(NEXT) | instid1(VALU_DEP_4)
	v_add_co_ci_u32_e64 v5, s0, 0, v134, s0
	v_fma_f64 v[147:148], v[147:148], v[155:156], -v[0:1]
	s_delay_alu instid0(VALU_DEP_4)
	v_fma_f64 v[149:150], v[149:150], v[155:156], v[2:3]
	global_load_b128 v[155:158], v[4:5], off offset:1856
	ds_load_b128 v[173:176], v169 offset:11616
	ds_load_b128 v[177:180], v169 offset:13552
	s_waitcnt vmcnt(1) lgkmcnt(1)
	v_mul_f64 v[0:1], v[175:176], v[153:154]
	v_mul_f64 v[2:3], v[173:174], v[153:154]
	s_delay_alu instid0(VALU_DEP_2) | instskip(NEXT) | instid1(VALU_DEP_2)
	v_fma_f64 v[173:174], v[173:174], v[151:152], -v[0:1]
	v_fma_f64 v[175:176], v[175:176], v[151:152], v[2:3]
	s_waitcnt vmcnt(0) lgkmcnt(0)
	v_mul_f64 v[0:1], v[179:180], v[157:158]
	v_mul_f64 v[2:3], v[177:178], v[157:158]
	s_delay_alu instid0(VALU_DEP_2) | instskip(NEXT) | instid1(VALU_DEP_2)
	v_fma_f64 v[151:152], v[177:178], v[155:156], -v[0:1]
	v_fma_f64 v[153:154], v[179:180], v[155:156], v[2:3]
	global_load_b128 v[155:158], v[4:5], off offset:3792
	v_add_co_u32 v0, s0, 0xa000, v133
	s_delay_alu instid0(VALU_DEP_1)
	v_add_co_ci_u32_e64 v1, s0, 0, v134, s0
	global_load_b128 v[177:180], v[0:1], off offset:1632
	ds_load_b128 v[181:184], v169 offset:15488
	ds_load_b128 v[185:188], v169 offset:17424
	s_waitcnt vmcnt(1) lgkmcnt(1)
	v_mul_f64 v[2:3], v[183:184], v[157:158]
	v_mul_f64 v[4:5], v[181:182], v[157:158]
	s_delay_alu instid0(VALU_DEP_2) | instskip(SKIP_2) | instid1(VALU_DEP_3)
	v_fma_f64 v[181:182], v[181:182], v[155:156], -v[2:3]
	s_waitcnt vmcnt(0) lgkmcnt(0)
	v_mul_f64 v[2:3], v[187:188], v[179:180]
	v_fma_f64 v[183:184], v[183:184], v[155:156], v[4:5]
	v_mul_f64 v[4:5], v[185:186], v[179:180]
	s_delay_alu instid0(VALU_DEP_3) | instskip(SKIP_1) | instid1(VALU_DEP_1)
	v_fma_f64 v[155:156], v[185:186], v[177:178], -v[2:3]
	v_add_co_u32 v2, s0, 0xb000, v133
	v_add_co_ci_u32_e64 v3, s0, 0, v134, s0
	s_delay_alu instid0(VALU_DEP_4)
	v_fma_f64 v[157:158], v[187:188], v[177:178], v[4:5]
	s_clause 0x1
	global_load_b128 v[177:180], v[0:1], off offset:3568
	global_load_b128 v[185:188], v[2:3], off offset:1408
	ds_load_b128 v[189:192], v169 offset:19360
	ds_load_b128 v[193:196], v169 offset:21296
	s_waitcnt vmcnt(1) lgkmcnt(1)
	v_mul_f64 v[0:1], v[191:192], v[179:180]
	v_mul_f64 v[4:5], v[189:190], v[179:180]
	s_delay_alu instid0(VALU_DEP_2) | instskip(NEXT) | instid1(VALU_DEP_2)
	v_fma_f64 v[189:190], v[189:190], v[177:178], -v[0:1]
	v_fma_f64 v[191:192], v[191:192], v[177:178], v[4:5]
	s_waitcnt vmcnt(0) lgkmcnt(0)
	v_mul_f64 v[0:1], v[195:196], v[187:188]
	v_mul_f64 v[4:5], v[193:194], v[187:188]
	s_delay_alu instid0(VALU_DEP_2) | instskip(NEXT) | instid1(VALU_DEP_2)
	v_fma_f64 v[177:178], v[193:194], v[185:186], -v[0:1]
	v_fma_f64 v[179:180], v[195:196], v[185:186], v[4:5]
	global_load_b128 v[185:188], v[2:3], off offset:3344
	ds_load_b128 v[193:196], v169 offset:23232
	s_waitcnt vmcnt(0) lgkmcnt(0)
	v_mul_f64 v[0:1], v[195:196], v[187:188]
	v_mul_f64 v[2:3], v[193:194], v[187:188]
	s_delay_alu instid0(VALU_DEP_2) | instskip(NEXT) | instid1(VALU_DEP_2)
	v_fma_f64 v[193:194], v[193:194], v[185:186], -v[0:1]
	v_fma_f64 v[195:196], v[195:196], v[185:186], v[2:3]
	ds_store_b128 v169, v[159:162]
	ds_store_b128 v169, v[163:166] offset:1936
	ds_store_b128 v169, v[135:138] offset:3872
	;; [unrolled: 1-line block ×12, first 2 shown]
.LBB0_9:
	s_or_b32 exec_lo, exec_lo, s1
	s_waitcnt lgkmcnt(0)
	s_barrier
	buffer_gl0_inv
	s_and_saveexec_b32 s0, vcc_lo
	s_cbranch_execz .LBB0_11
; %bb.10:
	ds_load_b128 v[88:91], v169
	ds_load_b128 v[104:107], v169 offset:1936
	ds_load_b128 v[92:95], v169 offset:3872
	;; [unrolled: 1-line block ×11, first 2 shown]
	s_waitcnt lgkmcnt(0)
	scratch_store_b128 off, v[0:3], off offset:16 ; 16-byte Folded Spill
	ds_load_b128 v[0:3], v169 offset:23232
	s_waitcnt lgkmcnt(0)
	scratch_store_b128 off, v[0:3], off     ; 16-byte Folded Spill
.LBB0_11:
	s_or_b32 exec_lo, exec_lo, s0
	s_waitcnt_vscnt null, 0x0
	s_barrier
	buffer_gl0_inv
	s_and_saveexec_b32 s33, vcc_lo
	s_cbranch_execz .LBB0_13
; %bb.12:
	v_add_f64 v[0:1], v[90:91], v[106:107]
	v_add_f64 v[2:3], v[88:89], v[104:105]
	scratch_load_b128 v[4:7], off, off offset:16 ; 16-byte Folded Reload
	v_add_f64 v[135:136], v[128:129], -v[124:125]
	v_add_f64 v[133:134], v[130:131], v[126:127]
	v_add_f64 v[10:11], v[110:111], -v[118:119]
	v_add_f64 v[12:13], v[100:101], -v[96:97]
	v_add_f64 v[14:15], v[102:103], v[98:99]
	v_add_f64 v[8:9], v[108:109], -v[116:117]
	s_mov_b32 s37, 0x3fddbe06
	s_mov_b32 s36, 0x4267c47c
	;; [unrolled: 1-line block ×29, first 2 shown]
	v_add_f64 v[0:1], v[0:1], v[94:95]
	v_add_f64 v[2:3], v[2:3], v[92:93]
	s_mov_b32 s38, s2
	v_mul_f64 v[145:146], v[135:136], s[36:37]
	v_mul_f64 v[201:202], v[135:136], s[30:31]
	;; [unrolled: 1-line block ×6, first 2 shown]
	v_add_f64 v[0:1], v[0:1], v[102:103]
	v_add_f64 v[2:3], v[2:3], v[100:101]
	s_delay_alu instid0(VALU_DEP_2) | instskip(NEXT) | instid1(VALU_DEP_2)
	v_add_f64 v[0:1], v[0:1], v[110:111]
	v_add_f64 v[2:3], v[2:3], v[108:109]
	;; [unrolled: 1-line block ×3, first 2 shown]
	s_delay_alu instid0(VALU_DEP_3) | instskip(NEXT) | instid1(VALU_DEP_3)
	v_add_f64 v[0:1], v[0:1], v[114:115]
	v_add_f64 v[2:3], v[2:3], v[112:113]
	s_delay_alu instid0(VALU_DEP_2) | instskip(NEXT) | instid1(VALU_DEP_2)
	v_add_f64 v[0:1], v[0:1], v[130:131]
	v_add_f64 v[2:3], v[2:3], v[128:129]
	v_add_f64 v[130:131], v[130:131], -v[126:127]
	v_add_f64 v[128:129], v[128:129], v[124:125]
	s_delay_alu instid0(VALU_DEP_4) | instskip(NEXT) | instid1(VALU_DEP_4)
	v_add_f64 v[0:1], v[0:1], v[126:127]
	v_add_f64 v[2:3], v[2:3], v[124:125]
	v_add_f64 v[126:127], v[112:113], -v[120:121]
	v_add_f64 v[124:125], v[114:115], v[122:123]
	v_add_f64 v[114:115], v[114:115], -v[122:123]
	v_add_f64 v[112:113], v[112:113], v[120:121]
	v_mul_f64 v[147:148], v[130:131], s[36:37]
	v_mul_f64 v[203:204], v[130:131], s[30:31]
	;; [unrolled: 1-line block ×3, first 2 shown]
	v_add_f64 v[0:1], v[0:1], v[122:123]
	v_add_f64 v[2:3], v[2:3], v[120:121]
	;; [unrolled: 1-line block ×3, first 2 shown]
	v_add_f64 v[110:111], v[102:103], -v[98:99]
	v_add_f64 v[122:123], v[100:101], v[96:97]
	v_mul_f64 v[102:103], v[126:127], s[36:37]
	v_add_f64 v[0:1], v[0:1], v[118:119]
	v_add_f64 v[2:3], v[2:3], v[116:117]
	v_mul_f64 v[139:140], v[110:111], s[36:37]
	s_delay_alu instid0(VALU_DEP_3)
	v_add_f64 v[0:1], v[0:1], v[98:99]
	scratch_load_b128 v[98:101], off, off   ; 16-byte Folded Reload
	v_add_f64 v[2:3], v[2:3], v[96:97]
	s_waitcnt vmcnt(1)
	v_add_f64 v[149:150], v[92:93], -v[4:5]
	v_add_f64 v[151:152], v[94:95], -v[6:7]
	v_add_f64 v[155:156], v[92:93], v[4:5]
	v_add_f64 v[153:154], v[94:95], v[6:7]
	;; [unrolled: 1-line block ×4, first 2 shown]
	s_waitcnt vmcnt(0)
	v_add_f64 v[6:7], v[104:105], -v[98:99]
	v_add_f64 v[92:93], v[106:107], -v[100:101]
	v_add_f64 v[94:95], v[106:107], v[100:101]
	v_add_f64 v[96:97], v[104:105], v[98:99]
	;; [unrolled: 1-line block ×4, first 2 shown]
	v_mul_f64 v[98:99], v[149:150], s[36:37]
	v_mul_f64 v[100:101], v[151:152], s[36:37]
	;; [unrolled: 1-line block ×3, first 2 shown]
	s_mov_b32 s37, 0xbfddbe06
	v_mul_f64 v[4:5], v[6:7], s[0:1]
	v_mul_f64 v[106:107], v[6:7], s[2:3]
	;; [unrolled: 1-line block ×10, first 2 shown]
	v_fma_f64 v[159:160], v[94:95], s[10:11], v[4:5]
	v_fma_f64 v[4:5], v[94:95], s[10:11], -v[4:5]
	v_fma_f64 v[161:162], v[94:95], s[16:17], v[106:107]
	v_fma_f64 v[106:107], v[94:95], s[16:17], -v[106:107]
	;; [unrolled: 2-line block ×6, first 2 shown]
	v_mul_f64 v[94:95], v[92:93], s[0:1]
	v_mul_f64 v[92:93], v[92:93], s[36:37]
	v_fma_f64 v[183:184], v[96:97], s[16:17], -v[173:174]
	v_fma_f64 v[173:174], v[96:97], s[16:17], v[173:174]
	v_fma_f64 v[185:186], v[96:97], s[18:19], -v[175:176]
	v_fma_f64 v[175:176], v[96:97], s[18:19], v[175:176]
	;; [unrolled: 2-line block ×4, first 2 shown]
	s_mov_b32 s37, 0x3fcea1e5
	s_mov_b32 s36, s0
	v_add_f64 v[161:162], v[90:91], v[161:162]
	v_add_f64 v[106:107], v[90:91], v[106:107]
	v_add_f64 v[163:164], v[90:91], v[163:164]
	v_add_f64 v[193:194], v[90:91], v[116:117]
	v_add_f64 v[165:166], v[90:91], v[165:166]
	v_add_f64 v[116:117], v[90:91], v[118:119]
	v_add_f64 v[167:168], v[90:91], v[167:168]
	v_add_f64 v[157:158], v[90:91], v[157:158]
	v_add_f64 v[170:171], v[90:91], v[170:171]
	v_fma_f64 v[181:182], v[96:97], s[10:11], -v[94:95]
	v_fma_f64 v[94:95], v[96:97], s[10:11], v[94:95]
	v_fma_f64 v[191:192], v[96:97], s[28:29], -v[92:93]
	v_fma_f64 v[92:93], v[96:97], s[28:29], v[92:93]
	v_add_f64 v[96:97], v[90:91], v[159:160]
	v_add_f64 v[183:184], v[88:89], v[183:184]
	;; [unrolled: 1-line block ×14, first 2 shown]
	v_fma_f64 v[4:5], v[153:154], s[28:29], v[98:99]
	v_mul_f64 v[88:89], v[12:13], s[2:3]
	v_add_f64 v[191:192], v[90:91], v[6:7]
	v_fma_f64 v[6:7], v[155:156], s[28:29], -v[100:101]
	v_fma_f64 v[98:99], v[153:154], s[28:29], -v[98:99]
	v_fma_f64 v[100:101], v[155:156], s[28:29], v[100:101]
	v_add_f64 v[4:5], v[4:5], v[96:97]
	v_fma_f64 v[90:91], v[14:15], s[16:17], v[88:89]
	v_fma_f64 v[88:89], v[14:15], s[16:17], -v[88:89]
	v_add_f64 v[6:7], v[6:7], v[159:160]
	v_add_f64 v[98:99], v[98:99], v[181:182]
	;; [unrolled: 1-line block ×3, first 2 shown]
	v_mul_f64 v[100:101], v[12:13], s[26:27]
	v_add_f64 v[4:5], v[90:91], v[4:5]
	v_mul_f64 v[90:91], v[110:111], s[2:3]
	v_add_f64 v[88:89], v[88:89], v[98:99]
	v_mul_f64 v[98:99], v[151:152], s[30:31]
	s_delay_alu instid0(VALU_DEP_3) | instskip(SKIP_1) | instid1(VALU_DEP_2)
	v_fma_f64 v[92:93], v[122:123], s[16:17], -v[90:91]
	v_fma_f64 v[90:91], v[122:123], s[16:17], v[90:91]
	v_add_f64 v[6:7], v[92:93], v[6:7]
	v_mul_f64 v[92:93], v[8:9], s[34:35]
	s_delay_alu instid0(VALU_DEP_3) | instskip(SKIP_1) | instid1(VALU_DEP_3)
	v_add_f64 v[90:91], v[90:91], v[94:95]
	v_fma_f64 v[94:95], v[128:129], s[20:21], v[203:204]
	v_fma_f64 v[96:97], v[120:121], s[22:23], v[92:93]
	v_fma_f64 v[92:93], v[120:121], s[22:23], -v[92:93]
	s_delay_alu instid0(VALU_DEP_2) | instskip(SKIP_1) | instid1(VALU_DEP_3)
	v_add_f64 v[4:5], v[96:97], v[4:5]
	v_mul_f64 v[96:97], v[10:11], s[34:35]
	v_add_f64 v[88:89], v[92:93], v[88:89]
	s_delay_alu instid0(VALU_DEP_2) | instskip(SKIP_2) | instid1(VALU_DEP_3)
	v_fma_f64 v[159:160], v[108:109], s[22:23], -v[96:97]
	v_fma_f64 v[92:93], v[108:109], s[22:23], v[96:97]
	v_mul_f64 v[96:97], v[149:150], s[30:31]
	v_add_f64 v[6:7], v[159:160], v[6:7]
	v_mul_f64 v[159:160], v[126:127], s[8:9]
	s_delay_alu instid0(VALU_DEP_4) | instskip(NEXT) | instid1(VALU_DEP_2)
	v_add_f64 v[90:91], v[92:93], v[90:91]
	v_fma_f64 v[197:198], v[124:125], s[18:19], v[159:160]
	v_fma_f64 v[92:93], v[124:125], s[18:19], -v[159:160]
	v_fma_f64 v[159:160], v[14:15], s[22:23], v[100:101]
	v_fma_f64 v[100:101], v[14:15], s[22:23], -v[100:101]
	s_delay_alu instid0(VALU_DEP_4) | instskip(SKIP_2) | instid1(VALU_DEP_2)
	v_add_f64 v[4:5], v[197:198], v[4:5]
	v_mul_f64 v[197:198], v[114:115], s[8:9]
	v_add_f64 v[88:89], v[92:93], v[88:89]
	v_fma_f64 v[92:93], v[112:113], s[18:19], v[197:198]
	v_fma_f64 v[199:200], v[112:113], s[18:19], -v[197:198]
	v_mul_f64 v[197:198], v[135:136], s[8:9]
	s_delay_alu instid0(VALU_DEP_3) | instskip(SKIP_1) | instid1(VALU_DEP_4)
	v_add_f64 v[92:93], v[92:93], v[90:91]
	v_fma_f64 v[90:91], v[133:134], s[20:21], -v[201:202]
	v_add_f64 v[199:200], v[199:200], v[6:7]
	v_fma_f64 v[6:7], v[133:134], s[20:21], v[201:202]
	s_delay_alu instid0(VALU_DEP_3)
	v_add_f64 v[90:91], v[90:91], v[88:89]
	v_add_f64 v[88:89], v[94:95], v[92:93]
	v_fma_f64 v[92:93], v[153:154], s[20:21], v[96:97]
	v_fma_f64 v[94:95], v[155:156], s[20:21], -v[98:99]
	v_fma_f64 v[96:97], v[153:154], s[20:21], -v[96:97]
	v_fma_f64 v[98:99], v[155:156], s[20:21], v[98:99]
	v_add_f64 v[6:7], v[6:7], v[4:5]
	v_fma_f64 v[4:5], v[128:129], s[20:21], -v[203:204]
	v_add_f64 v[92:93], v[92:93], v[161:162]
	v_add_f64 v[94:95], v[94:95], v[183:184]
	;; [unrolled: 1-line block ×4, first 2 shown]
	v_mul_f64 v[173:174], v[10:11], s[24:25]
	v_add_f64 v[4:5], v[4:5], v[199:200]
	v_mul_f64 v[199:200], v[130:131], s[8:9]
	v_add_f64 v[92:93], v[159:160], v[92:93]
	;; [unrolled: 2-line block ×3, first 2 shown]
	s_delay_alu instid0(VALU_DEP_2) | instskip(SKIP_2) | instid1(VALU_DEP_3)
	v_fma_f64 v[161:162], v[122:123], s[22:23], -v[159:160]
	v_fma_f64 v[100:101], v[122:123], s[22:23], v[159:160]
	v_mul_f64 v[159:160], v[149:150], s[38:39]
	v_add_f64 v[94:95], v[161:162], v[94:95]
	v_mul_f64 v[161:162], v[8:9], s[36:37]
	s_delay_alu instid0(VALU_DEP_4) | instskip(NEXT) | instid1(VALU_DEP_2)
	v_add_f64 v[98:99], v[100:101], v[98:99]
	v_fma_f64 v[181:182], v[120:121], s[10:11], v[161:162]
	v_fma_f64 v[100:101], v[120:121], s[10:11], -v[161:162]
	v_mul_f64 v[161:162], v[151:152], s[38:39]
	s_delay_alu instid0(VALU_DEP_3) | instskip(SKIP_1) | instid1(VALU_DEP_4)
	v_add_f64 v[92:93], v[181:182], v[92:93]
	v_mul_f64 v[181:182], v[10:11], s[36:37]
	v_add_f64 v[96:97], v[100:101], v[96:97]
	s_delay_alu instid0(VALU_DEP_2) | instskip(SKIP_2) | instid1(VALU_DEP_3)
	v_fma_f64 v[100:101], v[108:109], s[10:11], v[181:182]
	v_fma_f64 v[183:184], v[108:109], s[10:11], -v[181:182]
	v_mul_f64 v[181:182], v[126:127], s[36:37]
	v_add_f64 v[98:99], v[100:101], v[98:99]
	v_fma_f64 v[100:101], v[124:125], s[28:29], -v[102:103]
	s_delay_alu instid0(VALU_DEP_4) | instskip(SKIP_2) | instid1(VALU_DEP_4)
	v_add_f64 v[94:95], v[183:184], v[94:95]
	v_fma_f64 v[183:184], v[124:125], s[28:29], v[102:103]
	v_fma_f64 v[102:103], v[128:129], s[18:19], v[199:200]
	v_add_f64 v[96:97], v[100:101], v[96:97]
	v_fma_f64 v[100:101], v[112:113], s[28:29], v[104:105]
	s_delay_alu instid0(VALU_DEP_4)
	v_add_f64 v[92:93], v[183:184], v[92:93]
	v_fma_f64 v[183:184], v[112:113], s[28:29], -v[104:105]
	v_fma_f64 v[104:105], v[14:15], s[28:29], v[137:138]
	v_fma_f64 v[137:138], v[14:15], s[28:29], -v[137:138]
	v_add_f64 v[100:101], v[100:101], v[98:99]
	v_fma_f64 v[98:99], v[133:134], s[18:19], -v[197:198]
	v_add_f64 v[183:184], v[183:184], v[94:95]
	v_fma_f64 v[94:95], v[133:134], s[18:19], v[197:198]
	v_mul_f64 v[197:198], v[130:131], s[34:35]
	v_mul_f64 v[130:131], v[130:131], s[0:1]
	v_add_f64 v[98:99], v[98:99], v[96:97]
	v_add_f64 v[96:97], v[102:103], v[100:101]
	v_fma_f64 v[100:101], v[153:154], s[16:17], v[159:160]
	v_fma_f64 v[102:103], v[155:156], s[16:17], -v[161:162]
	v_add_f64 v[94:95], v[94:95], v[92:93]
	v_fma_f64 v[92:93], v[128:129], s[18:19], -v[199:200]
	v_mul_f64 v[199:200], v[149:150], s[8:9]
	v_fma_f64 v[159:160], v[153:154], s[16:17], -v[159:160]
	v_fma_f64 v[161:162], v[155:156], s[16:17], v[161:162]
	v_add_f64 v[100:101], v[100:101], v[163:164]
	v_add_f64 v[102:103], v[102:103], v[185:186]
	v_mul_f64 v[163:164], v[8:9], s[24:25]
	v_add_f64 v[92:93], v[92:93], v[183:184]
	v_mul_f64 v[183:184], v[114:115], s[36:37]
	v_mul_f64 v[185:186], v[135:136], s[34:35]
	v_add_f64 v[159:160], v[159:160], v[193:194]
	v_add_f64 v[161:162], v[161:162], v[175:176]
	v_mul_f64 v[135:136], v[135:136], s[0:1]
	v_add_f64 v[100:101], v[104:105], v[100:101]
	v_fma_f64 v[104:105], v[122:123], s[28:29], -v[139:140]
	v_fma_f64 v[139:140], v[122:123], s[28:29], v[139:140]
	v_add_f64 v[137:138], v[137:138], v[159:160]
	v_fma_f64 v[159:160], v[120:121], s[20:21], -v[163:164]
	s_delay_alu instid0(VALU_DEP_4)
	v_add_f64 v[102:103], v[104:105], v[102:103]
	v_fma_f64 v[104:105], v[120:121], s[20:21], v[163:164]
	v_add_f64 v[139:140], v[139:140], v[161:162]
	v_fma_f64 v[161:162], v[128:129], s[22:23], v[197:198]
	;; [unrolled: 2-line block ×3, first 2 shown]
	v_add_f64 v[100:101], v[104:105], v[100:101]
	v_fma_f64 v[104:105], v[108:109], s[20:21], -v[173:174]
	s_delay_alu instid0(VALU_DEP_3) | instskip(SKIP_1) | instid1(VALU_DEP_3)
	v_add_f64 v[139:140], v[159:160], v[139:140]
	v_fma_f64 v[159:160], v[124:125], s[10:11], -v[181:182]
	v_add_f64 v[102:103], v[104:105], v[102:103]
	v_fma_f64 v[104:105], v[124:125], s[10:11], v[181:182]
	s_delay_alu instid0(VALU_DEP_3) | instskip(SKIP_1) | instid1(VALU_DEP_3)
	v_add_f64 v[137:138], v[159:160], v[137:138]
	v_fma_f64 v[159:160], v[112:113], s[10:11], v[183:184]
	v_add_f64 v[100:101], v[104:105], v[100:101]
	v_fma_f64 v[104:105], v[112:113], s[10:11], -v[183:184]
	s_delay_alu instid0(VALU_DEP_3) | instskip(SKIP_1) | instid1(VALU_DEP_3)
	v_add_f64 v[159:160], v[159:160], v[139:140]
	v_fma_f64 v[139:140], v[133:134], s[22:23], -v[185:186]
	v_add_f64 v[104:105], v[104:105], v[102:103]
	v_fma_f64 v[102:103], v[133:134], s[22:23], v[185:186]
	s_delay_alu instid0(VALU_DEP_3) | instskip(SKIP_1) | instid1(VALU_DEP_3)
	v_add_f64 v[139:140], v[139:140], v[137:138]
	v_add_f64 v[137:138], v[161:162], v[159:160]
	;; [unrolled: 1-line block ×3, first 2 shown]
	v_fma_f64 v[100:101], v[128:129], s[22:23], -v[197:198]
	s_delay_alu instid0(VALU_DEP_1) | instskip(SKIP_1) | instid1(VALU_DEP_1)
	v_add_f64 v[100:101], v[100:101], v[104:105]
	v_fma_f64 v[104:105], v[153:154], s[18:19], -v[199:200]
	v_add_f64 v[104:105], v[104:105], v[157:158]
	v_mul_f64 v[157:158], v[151:152], s[8:9]
	s_delay_alu instid0(VALU_DEP_1) | instskip(SKIP_1) | instid1(VALU_DEP_2)
	v_fma_f64 v[106:107], v[155:156], s[18:19], v[157:158]
	v_fma_f64 v[157:158], v[155:156], s[18:19], -v[157:158]
	v_add_f64 v[106:107], v[106:107], v[179:180]
	v_mul_f64 v[179:180], v[12:13], s[0:1]
	s_delay_alu instid0(VALU_DEP_3) | instskip(NEXT) | instid1(VALU_DEP_2)
	v_add_f64 v[157:158], v[157:158], v[177:178]
	v_fma_f64 v[201:202], v[14:15], s[10:11], -v[179:180]
	s_delay_alu instid0(VALU_DEP_1) | instskip(SKIP_1) | instid1(VALU_DEP_1)
	v_add_f64 v[104:105], v[201:202], v[104:105]
	v_mul_f64 v[201:202], v[110:111], s[0:1]
	v_fma_f64 v[203:204], v[122:123], s[10:11], v[201:202]
	s_delay_alu instid0(VALU_DEP_1) | instskip(SKIP_2) | instid1(VALU_DEP_2)
	v_add_f64 v[106:107], v[203:204], v[106:107]
	v_mul_f64 v[203:204], v[8:9], s[38:39]
	v_mul_f64 v[8:9], v[8:9], s[8:9]
	v_fma_f64 v[205:206], v[120:121], s[16:17], -v[203:204]
	s_delay_alu instid0(VALU_DEP_1) | instskip(SKIP_2) | instid1(VALU_DEP_2)
	v_add_f64 v[104:105], v[205:206], v[104:105]
	v_mul_f64 v[205:206], v[10:11], s[38:39]
	v_mul_f64 v[10:11], v[10:11], s[8:9]
	v_fma_f64 v[207:208], v[108:109], s[16:17], v[205:206]
	s_delay_alu instid0(VALU_DEP_1) | instskip(SKIP_1) | instid1(VALU_DEP_1)
	v_add_f64 v[106:107], v[207:208], v[106:107]
	v_mul_f64 v[207:208], v[126:127], s[30:31]
	v_fma_f64 v[209:210], v[124:125], s[20:21], -v[207:208]
	s_delay_alu instid0(VALU_DEP_1) | instskip(SKIP_3) | instid1(VALU_DEP_1)
	v_add_f64 v[104:105], v[209:210], v[104:105]
	v_mul_f64 v[209:210], v[114:115], s[30:31]
	s_mov_b32 s31, 0x3fedeba7
	s_mov_b32 s30, s8
	v_fma_f64 v[211:212], v[112:113], s[20:21], v[209:210]
	s_delay_alu instid0(VALU_DEP_1) | instskip(SKIP_2) | instid1(VALU_DEP_2)
	v_add_f64 v[211:212], v[211:212], v[106:107]
	v_fma_f64 v[106:107], v[133:134], s[28:29], -v[145:146]
	v_fma_f64 v[145:146], v[133:134], s[28:29], v[145:146]
	v_add_f64 v[106:107], v[106:107], v[104:105]
	v_fma_f64 v[104:105], v[128:129], s[28:29], v[147:148]
	s_delay_alu instid0(VALU_DEP_1) | instskip(SKIP_1) | instid1(VALU_DEP_1)
	v_add_f64 v[104:105], v[104:105], v[211:212]
	v_mul_f64 v[211:212], v[149:150], s[0:1]
	v_fma_f64 v[213:214], v[153:154], s[10:11], -v[211:212]
	v_fma_f64 v[159:160], v[153:154], s[10:11], v[211:212]
	s_delay_alu instid0(VALU_DEP_2) | instskip(SKIP_1) | instid1(VALU_DEP_3)
	v_add_f64 v[116:117], v[213:214], v[116:117]
	v_mul_f64 v[213:214], v[151:152], s[0:1]
	v_add_f64 v[159:160], v[159:160], v[165:166]
	s_delay_alu instid0(VALU_DEP_2) | instskip(SKIP_1) | instid1(VALU_DEP_2)
	v_fma_f64 v[215:216], v[155:156], s[10:11], v[213:214]
	v_fma_f64 v[161:162], v[155:156], s[10:11], -v[213:214]
	v_add_f64 v[118:119], v[215:216], v[118:119]
	v_mul_f64 v[215:216], v[12:13], s[30:31]
	s_delay_alu instid0(VALU_DEP_3) | instskip(SKIP_1) | instid1(VALU_DEP_3)
	v_add_f64 v[161:162], v[161:162], v[187:188]
	v_mul_f64 v[12:13], v[12:13], s[24:25]
	v_fma_f64 v[217:218], v[14:15], s[18:19], -v[215:216]
	v_fma_f64 v[163:164], v[14:15], s[18:19], v[215:216]
	s_delay_alu instid0(VALU_DEP_2) | instskip(SKIP_1) | instid1(VALU_DEP_3)
	v_add_f64 v[116:117], v[217:218], v[116:117]
	v_mul_f64 v[217:218], v[110:111], s[30:31]
	v_add_f64 v[159:160], v[163:164], v[159:160]
	v_mul_f64 v[110:111], v[110:111], s[24:25]
	s_delay_alu instid0(VALU_DEP_3) | instskip(SKIP_1) | instid1(VALU_DEP_2)
	v_fma_f64 v[219:220], v[122:123], s[18:19], v[217:218]
	v_fma_f64 v[163:164], v[122:123], s[18:19], -v[217:218]
	v_add_f64 v[118:119], v[219:220], v[118:119]
	v_fma_f64 v[219:220], v[120:121], s[28:29], -v[141:142]
	v_fma_f64 v[141:142], v[120:121], s[28:29], v[141:142]
	s_delay_alu instid0(VALU_DEP_4) | instskip(NEXT) | instid1(VALU_DEP_3)
	v_add_f64 v[161:162], v[163:164], v[161:162]
	v_add_f64 v[116:117], v[219:220], v[116:117]
	v_fma_f64 v[219:220], v[108:109], s[28:29], v[143:144]
	s_delay_alu instid0(VALU_DEP_4) | instskip(SKIP_1) | instid1(VALU_DEP_3)
	v_add_f64 v[141:142], v[141:142], v[159:160]
	v_fma_f64 v[143:144], v[108:109], s[28:29], -v[143:144]
	v_add_f64 v[118:119], v[219:220], v[118:119]
	v_mul_f64 v[219:220], v[126:127], s[26:27]
	s_delay_alu instid0(VALU_DEP_3) | instskip(SKIP_2) | instid1(VALU_DEP_4)
	v_add_f64 v[143:144], v[143:144], v[161:162]
	v_fma_f64 v[161:162], v[128:129], s[16:17], -v[227:228]
	v_mul_f64 v[126:127], v[126:127], s[2:3]
	v_fma_f64 v[221:222], v[124:125], s[22:23], -v[219:220]
	v_fma_f64 v[159:160], v[124:125], s[22:23], v[219:220]
	s_delay_alu instid0(VALU_DEP_2) | instskip(SKIP_1) | instid1(VALU_DEP_3)
	v_add_f64 v[116:117], v[221:222], v[116:117]
	v_mul_f64 v[221:222], v[114:115], s[26:27]
	v_add_f64 v[141:142], v[159:160], v[141:142]
	v_mul_f64 v[114:115], v[114:115], s[2:3]
	s_delay_alu instid0(VALU_DEP_3) | instskip(SKIP_1) | instid1(VALU_DEP_2)
	v_fma_f64 v[159:160], v[112:113], s[22:23], -v[221:222]
	v_fma_f64 v[223:224], v[112:113], s[22:23], v[221:222]
	v_add_f64 v[159:160], v[159:160], v[143:144]
	v_fma_f64 v[143:144], v[133:134], s[16:17], v[225:226]
	s_delay_alu instid0(VALU_DEP_3) | instskip(SKIP_1) | instid1(VALU_DEP_3)
	v_add_f64 v[223:224], v[223:224], v[118:119]
	v_fma_f64 v[118:119], v[133:134], s[16:17], -v[225:226]
	v_add_f64 v[143:144], v[143:144], v[141:142]
	v_add_f64 v[141:142], v[161:162], v[159:160]
	v_fma_f64 v[159:160], v[153:154], s[18:19], v[199:200]
	v_fma_f64 v[161:162], v[14:15], s[10:11], v[179:180]
	v_add_f64 v[118:119], v[118:119], v[116:117]
	v_fma_f64 v[116:117], v[128:129], s[16:17], v[227:228]
	s_delay_alu instid0(VALU_DEP_4) | instskip(NEXT) | instid1(VALU_DEP_2)
	v_add_f64 v[159:160], v[159:160], v[167:168]
	v_add_f64 v[116:117], v[116:117], v[223:224]
	s_delay_alu instid0(VALU_DEP_2) | instskip(SKIP_1) | instid1(VALU_DEP_1)
	v_add_f64 v[159:160], v[161:162], v[159:160]
	v_fma_f64 v[161:162], v[122:123], s[10:11], -v[201:202]
	v_add_f64 v[157:158], v[161:162], v[157:158]
	v_fma_f64 v[161:162], v[120:121], s[16:17], v[203:204]
	s_delay_alu instid0(VALU_DEP_1) | instskip(SKIP_1) | instid1(VALU_DEP_1)
	v_add_f64 v[159:160], v[161:162], v[159:160]
	v_fma_f64 v[161:162], v[108:109], s[16:17], -v[205:206]
	v_add_f64 v[157:158], v[161:162], v[157:158]
	v_fma_f64 v[161:162], v[124:125], s[20:21], v[207:208]
	s_delay_alu instid0(VALU_DEP_1) | instskip(SKIP_1) | instid1(VALU_DEP_1)
	v_add_f64 v[159:160], v[161:162], v[159:160]
	v_fma_f64 v[161:162], v[112:113], s[20:21], -v[209:210]
	v_add_f64 v[157:158], v[161:162], v[157:158]
	v_fma_f64 v[161:162], v[128:129], s[28:29], -v[147:148]
	s_delay_alu instid0(VALU_DEP_4) | instskip(SKIP_1) | instid1(VALU_DEP_3)
	v_add_f64 v[147:148], v[145:146], v[159:160]
	v_mul_f64 v[159:160], v[151:152], s[26:27]
	v_add_f64 v[145:146], v[161:162], v[157:158]
	v_mul_f64 v[157:158], v[149:150], s[26:27]
	s_delay_alu instid0(VALU_DEP_3)
	v_fma_f64 v[151:152], v[155:156], s[22:23], v[159:160]
	v_fma_f64 v[161:162], v[14:15], s[20:21], -v[12:13]
	v_fma_f64 v[155:156], v[155:156], s[22:23], -v[159:160]
	v_fma_f64 v[12:13], v[14:15], s[20:21], v[12:13]
	v_fma_f64 v[149:150], v[153:154], s[22:23], -v[157:158]
	v_add_f64 v[151:152], v[151:152], v[195:196]
	v_fma_f64 v[153:154], v[153:154], s[22:23], v[157:158]
	s_delay_alu instid0(VALU_DEP_3) | instskip(NEXT) | instid1(VALU_DEP_2)
	v_add_f64 v[149:150], v[149:150], v[191:192]
	v_add_f64 v[14:15], v[153:154], v[170:171]
	s_delay_alu instid0(VALU_DEP_2) | instskip(SKIP_4) | instid1(VALU_DEP_4)
	v_add_f64 v[149:150], v[161:162], v[149:150]
	v_fma_f64 v[161:162], v[122:123], s[20:21], v[110:111]
	v_fma_f64 v[110:111], v[122:123], s[20:21], -v[110:111]
	v_add_f64 v[122:123], v[155:156], v[189:190]
	v_add_f64 v[12:13], v[12:13], v[14:15]
	;; [unrolled: 1-line block ×3, first 2 shown]
	v_fma_f64 v[161:162], v[120:121], s[18:19], -v[8:9]
	v_fma_f64 v[8:9], v[120:121], s[18:19], v[8:9]
	v_add_f64 v[14:15], v[110:111], v[122:123]
	s_delay_alu instid0(VALU_DEP_3)
	v_add_f64 v[149:150], v[161:162], v[149:150]
	v_fma_f64 v[161:162], v[108:109], s[18:19], v[10:11]
	v_fma_f64 v[10:11], v[108:109], s[18:19], -v[10:11]
	v_fma_f64 v[108:109], v[124:125], s[16:17], v[126:127]
	v_add_f64 v[8:9], v[8:9], v[12:13]
	v_fma_f64 v[12:13], v[112:113], s[16:17], -v[114:115]
	v_add_f64 v[151:152], v[161:162], v[151:152]
	v_fma_f64 v[161:162], v[124:125], s[16:17], -v[126:127]
	v_add_f64 v[10:11], v[10:11], v[14:15]
	v_fma_f64 v[14:15], v[133:134], s[10:11], v[135:136]
	v_add_f64 v[8:9], v[108:109], v[8:9]
	v_fma_f64 v[108:109], v[128:129], s[10:11], -v[130:131]
	v_add_f64 v[149:150], v[161:162], v[149:150]
	v_fma_f64 v[161:162], v[112:113], s[16:17], v[114:115]
	v_add_f64 v[10:11], v[12:13], v[10:11]
	v_add_f64 v[110:111], v[14:15], v[8:9]
	v_mul_lo_u16 v8, v255, 13
	s_delay_alu instid0(VALU_DEP_1) | instskip(NEXT) | instid1(VALU_DEP_1)
	v_and_b32_e32 v8, 0xffff, v8
	v_lshlrev_b32_e32 v8, 4, v8
	v_add_f64 v[161:162], v[161:162], v[151:152]
	v_fma_f64 v[151:152], v[133:134], s[10:11], -v[135:136]
	v_add_f64 v[108:109], v[108:109], v[10:11]
	s_delay_alu instid0(VALU_DEP_2) | instskip(SKIP_1) | instid1(VALU_DEP_1)
	v_add_f64 v[151:152], v[151:152], v[149:150]
	v_fma_f64 v[149:150], v[128:129], s[10:11], v[130:131]
	v_add_f64 v[149:150], v[149:150], v[161:162]
	ds_store_b128 v8, v[104:107] offset:32
	ds_store_b128 v8, v[116:119] offset:48
	;; [unrolled: 1-line block ×11, first 2 shown]
	ds_store_b128 v8, v[0:3]
	ds_store_b128 v8, v[108:111] offset:192
.LBB0_13:
	s_or_b32 exec_lo, exec_lo, s33
	s_waitcnt lgkmcnt(0)
	s_barrier
	buffer_gl0_inv
	ds_load_b128 v[0:3], v169 offset:2288
	ds_load_b128 v[88:91], v169 offset:22880
	;; [unrolled: 1-line block ×5, first 2 shown]
	scratch_load_b128 v[139:142], off, off offset:32 ; 16-byte Folded Reload
	ds_load_b128 v[104:107], v169 offset:18304
	ds_load_b128 v[108:111], v169 offset:9152
	;; [unrolled: 1-line block ×4, first 2 shown]
	scratch_load_b128 v[143:146], off, off offset:48 ; 16-byte Folded Reload
	s_mov_b32 s0, 0xf8bb580b
	s_mov_b32 s2, 0x8764f0ba
	;; [unrolled: 1-line block ×14, first 2 shown]
	s_waitcnt lgkmcnt(6)
	v_mul_f64 v[10:11], v[22:23], v[92:93]
	v_mul_f64 v[4:5], v[18:19], v[2:3]
	;; [unrolled: 1-line block ×4, first 2 shown]
	s_waitcnt lgkmcnt(4)
	v_mul_f64 v[122:123], v[34:35], v[100:101]
	s_waitcnt lgkmcnt(3)
	v_mul_f64 v[124:125], v[42:43], v[104:105]
	v_mul_f64 v[34:35], v[34:35], v[102:103]
	;; [unrolled: 1-line block ×3, first 2 shown]
	s_waitcnt lgkmcnt(1)
	v_mul_f64 v[135:136], v[54:55], v[114:115]
	v_mul_f64 v[54:55], v[54:55], v[112:113]
	;; [unrolled: 1-line block ×4, first 2 shown]
	s_waitcnt lgkmcnt(0)
	v_mul_f64 v[133:134], v[38:39], v[118:119]
	v_mul_f64 v[38:39], v[38:39], v[116:117]
	s_mov_b32 s27, 0xbfe82f19
	s_mov_b32 s29, 0xbfe4f49e
	;; [unrolled: 1-line block ×16, first 2 shown]
	v_fma_f64 v[22:23], v[16:17], v[0:1], v[4:5]
	v_fma_f64 v[120:121], v[16:17], v[2:3], -v[6:7]
	ds_load_b128 v[16:19], v169 offset:13728
	ds_load_b128 v[0:3], v169
	s_waitcnt vmcnt(0) lgkmcnt(0)
	s_barrier
	buffer_gl0_inv
	v_mul_f64 v[137:138], v[50:51], v[18:19]
	v_mul_f64 v[50:51], v[50:51], v[16:17]
	s_delay_alu instid0(VALU_DEP_2) | instskip(NEXT) | instid1(VALU_DEP_2)
	v_fma_f64 v[16:17], v[48:49], v[16:17], v[137:138]
	v_fma_f64 v[18:19], v[48:49], v[18:19], -v[50:51]
	v_mul_f64 v[8:9], v[141:142], v[88:89]
	v_mul_f64 v[126:127], v[141:142], v[90:91]
	;; [unrolled: 1-line block ×4, first 2 shown]
	s_delay_alu instid0(VALU_DEP_4)
	v_fma_f64 v[4:5], v[139:140], v[90:91], -v[8:9]
	v_fma_f64 v[90:91], v[20:21], v[94:95], -v[10:11]
	v_fma_f64 v[20:21], v[20:21], v[92:93], v[14:15]
	v_add_f64 v[92:93], v[0:1], v[22:23]
	v_add_f64 v[94:95], v[2:3], v[120:121]
	v_fma_f64 v[6:7], v[143:144], v[98:99], -v[12:13]
	v_fma_f64 v[98:99], v[32:33], v[102:103], -v[122:123]
	;; [unrolled: 1-line block ×3, first 2 shown]
	v_fma_f64 v[8:9], v[139:140], v[88:89], v[126:127]
	v_fma_f64 v[32:33], v[32:33], v[100:101], v[34:35]
	;; [unrolled: 1-line block ×3, first 2 shown]
	v_fma_f64 v[40:41], v[52:53], v[114:115], -v[54:55]
	v_fma_f64 v[34:35], v[28:29], v[108:109], v[130:131]
	v_fma_f64 v[28:29], v[28:29], v[110:111], -v[30:31]
	v_fma_f64 v[30:31], v[36:37], v[116:117], v[133:134]
	;; [unrolled: 2-line block ×3, first 2 shown]
	v_fma_f64 v[38:39], v[52:53], v[112:113], v[135:136]
	v_add_f64 v[42:43], v[120:121], -v[4:5]
	v_add_f64 v[48:49], v[120:121], v[4:5]
	v_add_f64 v[54:55], v[92:93], v[20:21]
	;; [unrolled: 1-line block ×3, first 2 shown]
	v_add_f64 v[50:51], v[90:91], -v[6:7]
	v_add_f64 v[52:53], v[90:91], v[6:7]
	v_add_f64 v[90:91], v[98:99], -v[14:15]
	v_add_f64 v[94:95], v[22:23], v[8:9]
	;; [unrolled: 2-line block ×4, first 2 shown]
	v_add_f64 v[92:93], v[98:99], v[14:15]
	v_add_f64 v[104:105], v[34:35], v[30:31]
	v_add_f64 v[106:107], v[28:29], v[36:37]
	v_add_f64 v[108:109], v[28:29], -v[36:37]
	v_add_f64 v[96:97], v[20:21], v[10:11]
	v_add_f64 v[20:21], v[20:21], -v[10:11]
	v_add_f64 v[110:111], v[34:35], -v[30:31]
	v_add_f64 v[112:113], v[38:39], v[16:17]
	v_add_f64 v[116:117], v[38:39], -v[16:17]
	v_add_f64 v[118:119], v[40:41], -v[18:19]
	v_mul_f64 v[120:121], v[42:43], s[0:1]
	v_mul_f64 v[122:123], v[48:49], s[2:3]
	;; [unrolled: 1-line block ×3, first 2 shown]
	v_add_f64 v[32:33], v[54:55], v[32:33]
	v_add_f64 v[54:55], v[88:89], v[98:99]
	v_mul_f64 v[126:127], v[48:49], s[16:17]
	v_mul_f64 v[128:129], v[42:43], s[20:21]
	;; [unrolled: 1-line block ×35, first 2 shown]
	v_fma_f64 v[199:200], v[94:95], s[16:17], v[124:125]
	v_add_f64 v[32:33], v[32:33], v[34:35]
	v_add_f64 v[28:29], v[54:55], v[28:29]
	v_mul_f64 v[34:35], v[114:115], s[22:23]
	v_fma_f64 v[54:55], v[94:95], s[2:3], v[120:121]
	v_fma_f64 v[114:115], v[22:23], s[8:9], v[122:123]
	v_fma_f64 v[120:121], v[94:95], s[2:3], -v[120:121]
	v_fma_f64 v[122:123], v[22:23], s[0:1], v[122:123]
	v_fma_f64 v[201:202], v[22:23], s[18:19], v[126:127]
	v_fma_f64 v[124:125], v[94:95], s[16:17], -v[124:125]
	;; [unrolled: 3-line block ×4, first 2 shown]
	v_fma_f64 v[211:212], v[94:95], s[36:37], v[42:43]
	v_fma_f64 v[213:214], v[22:23], s[38:39], v[48:49]
	;; [unrolled: 1-line block ×5, first 2 shown]
	v_fma_f64 v[42:43], v[94:95], s[36:37], -v[42:43]
	v_fma_f64 v[22:23], v[22:23], s[34:35], v[48:49]
	v_fma_f64 v[48:49], v[96:97], s[16:17], v[137:138]
	;; [unrolled: 1-line block ×3, first 2 shown]
	v_fma_f64 v[137:138], v[96:97], s[16:17], -v[137:138]
	v_fma_f64 v[139:140], v[20:21], s[10:11], v[139:140]
	v_fma_f64 v[215:216], v[96:97], s[28:29], v[141:142]
	;; [unrolled: 1-line block ×3, first 2 shown]
	v_fma_f64 v[141:142], v[96:97], s[28:29], -v[141:142]
	v_fma_f64 v[219:220], v[96:97], s[36:37], v[98:99]
	v_fma_f64 v[221:222], v[20:21], s[34:35], v[143:144]
	v_fma_f64 v[98:99], v[96:97], s[36:37], -v[98:99]
	v_fma_f64 v[223:224], v[96:97], s[22:23], v[145:146]
	v_fma_f64 v[225:226], v[20:21], s[20:21], v[147:148]
	;; [unrolled: 3-line block ×3, first 2 shown]
	v_add_f64 v[199:200], v[0:1], v[199:200]
	v_add_f64 v[32:33], v[32:33], v[38:39]
	v_add_f64 v[28:29], v[28:29], v[40:41]
	v_fma_f64 v[38:39], v[20:21], s[24:25], v[147:148]
	v_add_f64 v[54:55], v[0:1], v[54:55]
	v_fma_f64 v[40:41], v[96:97], s[2:3], v[50:51]
	v_add_f64 v[120:121], v[0:1], v[120:121]
	v_add_f64 v[122:123], v[2:3], v[122:123]
	;; [unrolled: 1-line block ×9, first 2 shown]
	v_fma_f64 v[147:148], v[20:21], s[0:1], v[52:53]
	v_add_f64 v[133:134], v[0:1], v[133:134]
	v_add_f64 v[211:212], v[0:1], v[211:212]
	;; [unrolled: 1-line block ×3, first 2 shown]
	v_fma_f64 v[50:51], v[96:97], s[2:3], -v[50:51]
	v_fma_f64 v[20:21], v[20:21], s[8:9], v[52:53]
	v_add_f64 v[0:1], v[0:1], v[42:43]
	v_add_f64 v[22:23], v[2:3], v[22:23]
	;; [unrolled: 1-line block ×6, first 2 shown]
	v_fma_f64 v[52:53], v[100:101], s[22:23], v[149:150]
	v_fma_f64 v[96:97], v[102:103], s[24:25], v[151:152]
	v_fma_f64 v[149:150], v[100:101], s[22:23], -v[149:150]
	v_fma_f64 v[151:152], v[102:103], s[20:21], v[151:152]
	v_fma_f64 v[227:228], v[100:101], s[36:37], v[153:154]
	;; [unrolled: 1-line block ×3, first 2 shown]
	v_mul_f64 v[177:178], v[106:107], s[2:3]
	v_fma_f64 v[231:232], v[100:101], s[16:17], v[157:158]
	v_fma_f64 v[233:234], v[102:103], s[10:11], v[159:160]
	v_mul_f64 v[179:180], v[108:109], s[34:35]
	v_mul_f64 v[181:182], v[106:107], s[36:37]
	v_fma_f64 v[157:158], v[100:101], s[16:17], -v[157:158]
	v_add_f64 v[16:17], v[32:33], v[16:17]
	v_add_f64 v[18:19], v[28:29], v[18:19]
	v_fma_f64 v[28:29], v[100:101], s[2:3], v[161:162]
	v_add_f64 v[48:49], v[48:49], v[54:55]
	v_fma_f64 v[32:33], v[102:103], s[8:9], v[163:164]
	v_add_f64 v[54:55], v[137:138], v[120:121]
	v_add_f64 v[120:121], v[139:140], v[122:123]
	;; [unrolled: 1-line block ×10, first 2 shown]
	v_mul_f64 v[167:168], v[106:107], s[28:29]
	v_mul_f64 v[108:109], v[108:109], s[18:19]
	;; [unrolled: 1-line block ×3, first 2 shown]
	v_fma_f64 v[114:115], v[100:101], s[2:3], -v[161:162]
	v_fma_f64 v[135:136], v[102:103], s[0:1], v[163:164]
	v_fma_f64 v[161:162], v[100:101], s[28:29], v[90:91]
	;; [unrolled: 1-line block ×3, first 2 shown]
	v_add_f64 v[133:134], v[145:146], v[133:134]
	v_add_f64 v[40:41], v[40:41], v[211:212]
	;; [unrolled: 1-line block ×3, first 2 shown]
	v_fma_f64 v[90:91], v[100:101], s[28:29], -v[90:91]
	v_fma_f64 v[92:93], v[102:103], s[26:27], v[92:93]
	v_add_f64 v[0:1], v[50:51], v[0:1]
	v_add_f64 v[20:21], v[20:21], v[22:23]
	;; [unrolled: 1-line block ×3, first 2 shown]
	v_fma_f64 v[159:160], v[102:103], s[18:19], v[159:160]
	v_add_f64 v[38:39], v[143:144], v[130:131]
	v_fma_f64 v[153:154], v[100:101], s[36:37], -v[153:154]
	v_fma_f64 v[155:156], v[102:103], s[38:39], v[155:156]
	v_add_f64 v[42:43], v[88:89], v[126:127]
	v_add_f64 v[2:3], v[94:95], v[2:3]
	v_mul_f64 v[187:188], v[118:119], s[8:9]
	v_fma_f64 v[100:101], v[104:105], s[28:29], v[165:166]
	v_add_f64 v[16:17], v[16:17], v[30:31]
	v_add_f64 v[18:19], v[18:19], v[36:37]
	v_fma_f64 v[235:236], v[104:105], s[22:23], v[170:171]
	v_fma_f64 v[237:238], v[110:111], s[20:21], v[173:174]
	v_add_f64 v[48:49], v[52:53], v[48:49]
	v_add_f64 v[52:53], v[149:150], v[54:55]
	;; [unrolled: 1-line block ×5, first 2 shown]
	v_mul_f64 v[191:192], v[118:119], s[26:27]
	v_fma_f64 v[30:31], v[104:105], s[2:3], v[175:176]
	v_fma_f64 v[36:37], v[110:111], s[8:9], v[177:178]
	v_add_f64 v[137:138], v[231:232], v[139:140]
	v_add_f64 v[139:140], v[233:234], v[141:142]
	v_mul_f64 v[195:196], v[118:119], s[18:19]
	v_fma_f64 v[50:51], v[104:105], s[2:3], -v[175:176]
	v_fma_f64 v[94:95], v[104:105], s[36:37], v[179:180]
	v_fma_f64 v[126:127], v[110:111], s[38:39], v[181:182]
	v_add_f64 v[98:99], v[157:158], v[98:99]
	v_add_f64 v[28:29], v[28:29], v[128:129]
	;; [unrolled: 1-line block ×3, first 2 shown]
	v_mul_f64 v[183:184], v[118:119], s[34:35]
	v_mul_f64 v[118:119], v[118:119], s[20:21]
	v_fma_f64 v[147:148], v[104:105], s[16:17], v[108:109]
	v_fma_f64 v[175:176], v[110:111], s[10:11], v[106:107]
	v_add_f64 v[40:41], v[161:162], v[40:41]
	v_add_f64 v[128:129], v[163:164], v[145:146]
	v_fma_f64 v[102:103], v[110:111], s[30:31], v[167:168]
	v_fma_f64 v[165:166], v[104:105], s[28:29], -v[165:166]
	v_fma_f64 v[167:168], v[110:111], s[26:27], v[167:168]
	v_fma_f64 v[170:171], v[104:105], s[22:23], -v[170:171]
	v_fma_f64 v[130:131], v[104:105], s[36:37], -v[179:180]
	;; [unrolled: 1-line block ×3, first 2 shown]
	v_fma_f64 v[106:107], v[110:111], s[18:19], v[106:107]
	v_add_f64 v[0:1], v[90:91], v[0:1]
	v_add_f64 v[20:21], v[92:93], v[20:21]
	v_fma_f64 v[143:144], v[110:111], s[34:35], v[181:182]
	v_add_f64 v[114:115], v[114:115], v[133:134]
	v_add_f64 v[22:23], v[135:136], v[22:23]
	v_fma_f64 v[88:89], v[110:111], s[0:1], v[177:178]
	v_add_f64 v[38:39], v[159:160], v[38:39]
	v_fma_f64 v[173:174], v[110:111], s[24:25], v[173:174]
	v_add_f64 v[124:125], v[153:154], v[124:125]
	v_add_f64 v[42:43], v[155:156], v[42:43]
	;; [unrolled: 1-line block ×5, first 2 shown]
	v_fma_f64 v[110:111], v[116:117], s[38:39], v[185:186]
	v_fma_f64 v[179:180], v[116:117], s[34:35], v[185:186]
	;; [unrolled: 1-line block ×11, first 2 shown]
	v_add_f64 v[48:49], v[100:101], v[48:49]
	v_add_f64 v[100:101], v[235:236], v[120:121]
	;; [unrolled: 1-line block ×3, first 2 shown]
	v_fma_f64 v[96:97], v[112:113], s[28:29], v[191:192]
	v_add_f64 v[30:31], v[30:31], v[137:138]
	v_add_f64 v[36:37], v[36:37], v[139:140]
	v_fma_f64 v[145:146], v[112:113], s[16:17], v[195:196]
	v_add_f64 v[50:51], v[50:51], v[98:99]
	v_add_f64 v[94:95], v[94:95], v[28:29]
	;; [unrolled: 1-line block ×3, first 2 shown]
	v_fma_f64 v[108:109], v[112:113], s[36:37], v[183:184]
	v_fma_f64 v[135:136], v[112:113], s[28:29], -v[191:192]
	v_fma_f64 v[155:156], v[112:113], s[22:23], v[118:119]
	v_add_f64 v[120:121], v[147:148], v[40:41]
	v_add_f64 v[122:123], v[175:176], v[128:129]
	v_fma_f64 v[177:178], v[112:113], s[36:37], -v[183:184]
	v_fma_f64 v[90:91], v[112:113], s[2:3], -v[187:188]
	;; [unrolled: 1-line block ×4, first 2 shown]
	v_add_f64 v[52:53], v[165:166], v[52:53]
	v_add_f64 v[54:55], v[167:168], v[54:55]
	;; [unrolled: 1-line block ×34, first 2 shown]
	ds_store_b128 v172, v[14:17] offset:416
	ds_store_b128 v172, v[28:31] offset:624
	ds_store_b128 v172, v[36:39] offset:832
	ds_store_b128 v172, v[48:51] offset:1040
	ds_store_b128 v172, v[52:55] offset:1248
	ds_store_b128 v172, v[40:43] offset:1456
	ds_store_b128 v172, v[32:35] offset:1664
	ds_store_b128 v172, v[18:21] offset:1872
	ds_store_b128 v172, v[10:13] offset:2080
	ds_store_b128 v172, v[6:9]
	ds_store_b128 v172, v[0:3] offset:208
	s_waitcnt lgkmcnt(0)
	s_barrier
	buffer_gl0_inv
	ds_load_b128 v[0:3], v169 offset:2288
	ds_load_b128 v[6:9], v169 offset:22880
	;; [unrolled: 1-line block ×4, first 2 shown]
	s_waitcnt lgkmcnt(2)
	v_mul_f64 v[42:43], v[62:63], v[6:7]
	v_mul_f64 v[4:5], v[26:27], v[2:3]
	;; [unrolled: 1-line block ×3, first 2 shown]
	s_waitcnt lgkmcnt(1)
	v_mul_f64 v[52:53], v[46:47], v[10:11]
	s_waitcnt lgkmcnt(0)
	v_mul_f64 v[54:55], v[58:59], v[14:15]
	v_mul_f64 v[46:47], v[46:47], v[12:13]
	ds_load_b128 v[18:21], v169 offset:6864
	ds_load_b128 v[26:29], v169 offset:18304
	;; [unrolled: 1-line block ×6, first 2 shown]
	v_mul_f64 v[58:59], v[58:59], v[16:17]
	v_mul_f64 v[62:63], v[62:63], v[8:9]
	s_waitcnt lgkmcnt(4)
	v_mul_f64 v[92:93], v[78:79], v[26:27]
	s_waitcnt lgkmcnt(3)
	v_mul_f64 v[94:95], v[66:67], v[32:33]
	v_mul_f64 v[78:79], v[78:79], v[28:29]
	v_mul_f64 v[66:67], v[66:67], v[30:31]
	s_waitcnt lgkmcnt(1)
	v_mul_f64 v[96:97], v[74:75], v[40:41]
	v_mul_f64 v[74:75], v[74:75], v[38:39]
	;; [unrolled: 1-line block ×4, first 2 shown]
	v_fma_f64 v[88:89], v[24:25], v[0:1], v[4:5]
	v_fma_f64 v[90:91], v[24:25], v[2:3], -v[22:23]
	ds_load_b128 v[22:25], v169
	v_mul_f64 v[2:3], v[70:71], v[18:19]
	v_mul_f64 v[70:71], v[70:71], v[20:21]
	s_waitcnt lgkmcnt(1)
	v_mul_f64 v[98:99], v[86:87], v[50:51]
	v_mul_f64 v[86:87], v[86:87], v[48:49]
	v_fma_f64 v[0:1], v[60:61], v[8:9], -v[42:43]
	v_fma_f64 v[12:13], v[44:45], v[12:13], -v[52:53]
	;; [unrolled: 1-line block ×3, first 2 shown]
	v_fma_f64 v[16:17], v[44:45], v[10:11], v[46:47]
	v_fma_f64 v[8:9], v[76:77], v[28:29], -v[92:93]
	v_fma_f64 v[10:11], v[76:77], v[26:27], v[78:79]
	v_fma_f64 v[26:27], v[64:65], v[32:33], -v[66:67]
	v_fma_f64 v[28:29], v[72:73], v[38:39], v[96:97]
	v_fma_f64 v[34:35], v[80:81], v[34:35], v[100:101]
	v_fma_f64 v[36:37], v[80:81], v[36:37], -v[82:83]
	s_waitcnt lgkmcnt(0)
	v_add_f64 v[42:43], v[22:23], v[88:89]
	v_add_f64 v[44:45], v[24:25], v[90:91]
	v_fma_f64 v[20:21], v[68:69], v[20:21], -v[2:3]
	v_fma_f64 v[18:19], v[68:69], v[18:19], v[70:71]
	v_fma_f64 v[32:33], v[84:85], v[48:49], v[98:99]
	v_fma_f64 v[38:39], v[84:85], v[50:51], -v[86:87]
	v_fma_f64 v[2:3], v[60:61], v[6:7], v[62:63]
	v_fma_f64 v[6:7], v[56:57], v[14:15], v[58:59]
	v_add_f64 v[48:49], v[12:13], -v[4:5]
	v_add_f64 v[50:51], v[12:13], v[4:5]
	v_fma_f64 v[14:15], v[64:65], v[30:31], v[94:95]
	v_fma_f64 v[30:31], v[72:73], v[40:41], -v[74:75]
	v_add_f64 v[40:41], v[90:91], -v[0:1]
	v_add_f64 v[46:47], v[90:91], v[0:1]
	v_add_f64 v[42:43], v[42:43], v[16:17]
	v_add_f64 v[12:13], v[44:45], v[12:13]
	v_add_f64 v[44:45], v[20:21], -v[8:9]
	v_add_f64 v[60:61], v[18:19], v[10:11]
	v_add_f64 v[62:63], v[18:19], -v[10:11]
	v_add_f64 v[74:75], v[38:39], v[36:37]
	v_add_f64 v[54:55], v[88:89], v[2:3]
	v_add_f64 v[56:57], v[88:89], -v[2:3]
	v_add_f64 v[52:53], v[20:21], v[8:9]
	v_add_f64 v[58:59], v[16:17], v[6:7]
	;; [unrolled: 1-line block ×3, first 2 shown]
	v_add_f64 v[70:71], v[14:15], -v[28:29]
	v_mul_f64 v[80:81], v[40:41], s[0:1]
	v_mul_f64 v[82:83], v[46:47], s[2:3]
	;; [unrolled: 1-line block ×10, first 2 shown]
	v_add_f64 v[16:17], v[16:17], -v[6:7]
	v_add_f64 v[66:67], v[26:27], v[30:31]
	v_add_f64 v[68:69], v[26:27], -v[30:31]
	v_mul_f64 v[96:97], v[48:49], s[10:11]
	v_mul_f64 v[98:99], v[50:51], s[16:17]
	;; [unrolled: 1-line block ×6, first 2 shown]
	v_add_f64 v[72:73], v[32:33], v[34:35]
	v_add_f64 v[76:77], v[32:33], -v[34:35]
	v_add_f64 v[78:79], v[38:39], -v[36:37]
	v_add_f64 v[18:19], v[42:43], v[18:19]
	v_add_f64 v[12:13], v[12:13], v[20:21]
	v_mul_f64 v[20:21], v[50:51], s[28:29]
	v_mul_f64 v[42:43], v[48:49], s[38:39]
	;; [unrolled: 1-line block ×13, first 2 shown]
	v_fma_f64 v[157:158], v[54:55], s[16:17], v[84:85]
	v_fma_f64 v[159:160], v[56:57], s[18:19], v[86:87]
	v_fma_f64 v[84:85], v[54:55], s[16:17], -v[84:85]
	v_fma_f64 v[161:162], v[54:55], s[22:23], v[88:89]
	v_fma_f64 v[163:164], v[56:57], s[24:25], v[90:91]
	v_fma_f64 v[88:89], v[54:55], s[22:23], -v[88:89]
	;; [unrolled: 3-line block ×4, first 2 shown]
	v_fma_f64 v[46:47], v[56:57], s[34:35], v[46:47]
	v_fma_f64 v[94:95], v[56:57], s[26:27], v[94:95]
	;; [unrolled: 1-line block ×5, first 2 shown]
	v_mul_f64 v[118:119], v[52:53], s[16:17]
	v_fma_f64 v[100:101], v[58:59], s[28:29], -v[100:101]
	v_fma_f64 v[180:181], v[16:17], s[34:35], v[102:103]
	v_mul_f64 v[120:121], v[44:45], s[0:1]
	v_mul_f64 v[122:123], v[52:53], s[2:3]
	v_fma_f64 v[182:183], v[58:59], s[22:23], v[104:105]
	v_add_f64 v[14:15], v[18:19], v[14:15]
	v_add_f64 v[12:13], v[12:13], v[26:27]
	v_mul_f64 v[18:19], v[74:75], s[22:23]
	v_fma_f64 v[26:27], v[54:55], s[2:3], v[80:81]
	v_fma_f64 v[74:75], v[56:57], s[8:9], v[82:83]
	v_fma_f64 v[80:81], v[54:55], s[2:3], -v[80:81]
	v_fma_f64 v[82:83], v[56:57], s[0:1], v[82:83]
	v_fma_f64 v[54:55], v[58:59], s[16:17], v[96:97]
	v_fma_f64 v[56:57], v[16:17], s[18:19], v[98:99]
	v_fma_f64 v[96:97], v[58:59], s[16:17], -v[96:97]
	v_fma_f64 v[98:99], v[16:17], s[10:11], v[98:99]
	;; [unrolled: 4-line block ×3, first 2 shown]
	v_add_f64 v[157:158], v[22:23], v[157:158]
	v_add_f64 v[159:160], v[24:25], v[159:160]
	;; [unrolled: 1-line block ×8, first 2 shown]
	v_mul_f64 v[44:45], v[44:45], s[26:27]
	v_mul_f64 v[52:53], v[52:53], s[28:29]
	v_fma_f64 v[104:105], v[58:59], s[22:23], -v[104:105]
	v_add_f64 v[92:93], v[22:23], v[92:93]
	v_add_f64 v[170:171], v[22:23], v[170:171]
	v_add_f64 v[172:173], v[24:25], v[172:173]
	v_fma_f64 v[20:21], v[16:17], s[26:27], v[20:21]
	v_fma_f64 v[102:103], v[16:17], s[38:39], v[102:103]
	v_add_f64 v[90:91], v[24:25], v[90:91]
	v_add_f64 v[86:87], v[24:25], v[86:87]
	v_mul_f64 v[124:125], v[68:69], s[26:27]
	v_mul_f64 v[128:129], v[68:69], s[24:25]
	;; [unrolled: 1-line block ×3, first 2 shown]
	v_fma_f64 v[186:187], v[60:61], s[36:37], v[112:113]
	v_fma_f64 v[188:189], v[62:63], s[34:35], v[114:115]
	v_add_f64 v[14:15], v[14:15], v[32:33]
	v_add_f64 v[12:13], v[12:13], v[38:39]
	v_fma_f64 v[32:33], v[16:17], s[24:25], v[106:107]
	v_add_f64 v[26:27], v[22:23], v[26:27]
	v_fma_f64 v[38:39], v[58:59], s[2:3], v[48:49]
	v_add_f64 v[80:81], v[22:23], v[80:81]
	v_add_f64 v[82:83], v[24:25], v[82:83]
	v_fma_f64 v[106:107], v[16:17], s[0:1], v[50:51]
	v_fma_f64 v[48:49], v[58:59], s[2:3], -v[48:49]
	v_fma_f64 v[16:17], v[16:17], s[8:9], v[50:51]
	v_add_f64 v[22:23], v[22:23], v[40:41]
	v_add_f64 v[40:41], v[24:25], v[46:47]
	;; [unrolled: 1-line block ×4, first 2 shown]
	v_fma_f64 v[50:51], v[60:61], s[22:23], v[108:109]
	v_fma_f64 v[58:59], v[62:63], s[24:25], v[110:111]
	v_fma_f64 v[108:109], v[60:61], s[22:23], -v[108:109]
	v_fma_f64 v[110:111], v[62:63], s[20:21], v[110:111]
	v_mul_f64 v[133:134], v[68:69], s[0:1]
	v_mul_f64 v[135:136], v[66:67], s[2:3]
	v_fma_f64 v[190:191], v[60:61], s[16:17], v[116:117]
	v_fma_f64 v[192:193], v[62:63], s[10:11], v[118:119]
	v_add_f64 v[84:85], v[100:101], v[84:85]
	v_add_f64 v[100:101], v[180:181], v[163:164]
	v_mul_f64 v[137:138], v[68:69], s[34:35]
	v_mul_f64 v[139:140], v[66:67], s[36:37]
	v_add_f64 v[42:43], v[42:43], v[88:89]
	v_add_f64 v[88:89], v[182:183], v[165:166]
	v_mul_f64 v[126:127], v[66:67], s[28:29]
	v_mul_f64 v[68:69], v[68:69], s[18:19]
	;; [unrolled: 1-line block ×3, first 2 shown]
	v_fma_f64 v[74:75], v[60:61], s[2:3], -v[120:121]
	v_fma_f64 v[94:95], v[62:63], s[0:1], v[122:123]
	v_add_f64 v[92:93], v[104:105], v[92:93]
	v_fma_f64 v[116:117], v[60:61], s[16:17], -v[116:117]
	v_fma_f64 v[118:119], v[62:63], s[18:19], v[118:119]
	v_fma_f64 v[112:113], v[60:61], s[36:37], -v[112:113]
	v_fma_f64 v[114:115], v[62:63], s[38:39], v[114:115]
	v_add_f64 v[14:15], v[14:15], v[34:35]
	v_add_f64 v[12:13], v[12:13], v[36:37]
	v_fma_f64 v[34:35], v[60:61], s[2:3], v[120:121]
	v_add_f64 v[26:27], v[54:55], v[26:27]
	v_fma_f64 v[36:37], v[62:63], s[8:9], v[122:123]
	v_add_f64 v[54:55], v[96:97], v[80:81]
	v_add_f64 v[80:81], v[98:99], v[82:83]
	;; [unrolled: 1-line block ×6, first 2 shown]
	v_fma_f64 v[120:121], v[60:61], s[28:29], v[44:45]
	v_fma_f64 v[122:123], v[62:63], s[30:31], v[52:53]
	v_add_f64 v[38:39], v[38:39], v[170:171]
	v_add_f64 v[104:105], v[106:107], v[172:173]
	v_fma_f64 v[44:45], v[60:61], s[28:29], -v[44:45]
	v_fma_f64 v[52:53], v[62:63], s[26:27], v[52:53]
	v_add_f64 v[22:23], v[48:49], v[22:23]
	v_add_f64 v[16:17], v[16:17], v[40:41]
	;; [unrolled: 1-line block ×6, first 2 shown]
	v_mul_f64 v[145:146], v[78:79], s[8:9]
	v_fma_f64 v[60:61], v[64:65], s[28:29], v[124:125]
	v_fma_f64 v[194:195], v[64:65], s[22:23], v[128:129]
	;; [unrolled: 1-line block ×3, first 2 shown]
	v_mul_f64 v[149:150], v[78:79], s[26:27]
	v_mul_f64 v[153:154], v[78:79], s[18:19]
	v_fma_f64 v[56:57], v[64:65], s[36:37], v[137:138]
	v_fma_f64 v[86:87], v[70:71], s[38:39], v[139:140]
	v_mul_f64 v[141:142], v[78:79], s[34:35]
	v_mul_f64 v[78:79], v[78:79], s[20:21]
	v_fma_f64 v[46:47], v[64:65], s[2:3], -v[133:134]
	v_fma_f64 v[106:107], v[64:65], s[16:17], v[68:69]
	v_fma_f64 v[124:125], v[64:65], s[28:29], -v[124:125]
	v_fma_f64 v[128:129], v[64:65], s[22:23], -v[128:129]
	;; [unrolled: 1-line block ×3, first 2 shown]
	v_add_f64 v[14:15], v[14:15], v[28:29]
	v_add_f64 v[12:13], v[12:13], v[30:31]
	v_fma_f64 v[28:29], v[64:65], s[2:3], v[133:134]
	v_add_f64 v[26:27], v[50:51], v[26:27]
	v_fma_f64 v[30:31], v[70:71], s[8:9], v[135:136]
	v_add_f64 v[50:51], v[108:109], v[54:55]
	v_add_f64 v[54:55], v[110:111], v[80:81]
	;; [unrolled: 1-line block ×8, first 2 shown]
	v_fma_f64 v[133:134], v[70:71], s[10:11], v[66:67]
	v_add_f64 v[38:39], v[120:121], v[38:39]
	v_add_f64 v[88:89], v[122:123], v[104:105]
	v_fma_f64 v[64:65], v[64:65], s[16:17], -v[68:69]
	v_fma_f64 v[66:67], v[70:71], s[18:19], v[66:67]
	v_add_f64 v[42:43], v[116:117], v[42:43]
	v_add_f64 v[22:23], v[44:45], v[22:23]
	;; [unrolled: 1-line block ×3, first 2 shown]
	v_fma_f64 v[102:103], v[70:71], s[34:35], v[139:140]
	v_add_f64 v[74:75], v[74:75], v[92:93]
	v_add_f64 v[32:33], v[94:95], v[32:33]
	v_fma_f64 v[48:49], v[70:71], s[0:1], v[135:136]
	v_add_f64 v[40:41], v[118:119], v[40:41]
	v_fma_f64 v[130:131], v[70:71], s[24:25], v[130:131]
	v_add_f64 v[84:85], v[112:113], v[84:85]
	v_add_f64 v[20:21], v[114:115], v[20:21]
	v_fma_f64 v[62:63], v[70:71], s[30:31], v[126:127]
	v_fma_f64 v[126:127], v[70:71], s[26:27], v[126:127]
	;; [unrolled: 1-line block ×9, first 2 shown]
	v_add_f64 v[10:11], v[14:15], v[10:11]
	v_add_f64 v[8:9], v[12:13], v[8:9]
	;; [unrolled: 1-line block ×3, first 2 shown]
	v_fma_f64 v[14:15], v[72:73], s[2:3], v[145:146]
	v_fma_f64 v[24:25], v[76:77], s[0:1], v[147:148]
	;; [unrolled: 1-line block ×4, first 2 shown]
	v_add_f64 v[26:27], v[60:61], v[26:27]
	v_add_f64 v[60:61], v[194:195], v[80:81]
	;; [unrolled: 1-line block ×3, first 2 shown]
	v_fma_f64 v[58:59], v[72:73], s[28:29], v[149:150]
	v_add_f64 v[28:29], v[28:29], v[96:97]
	v_add_f64 v[30:31], v[30:31], v[98:99]
	v_fma_f64 v[104:105], v[72:73], s[16:17], v[153:154]
	v_add_f64 v[34:35], v[56:57], v[34:35]
	v_add_f64 v[36:37], v[86:87], v[36:37]
	;; [unrolled: 3-line block ×3, first 2 shown]
	v_fma_f64 v[68:69], v[72:73], s[36:37], v[141:142]
	v_fma_f64 v[135:136], v[72:73], s[36:37], -v[141:142]
	v_fma_f64 v[44:45], v[72:73], s[2:3], -v[145:146]
	;; [unrolled: 1-line block ×5, first 2 shown]
	v_add_f64 v[42:43], v[46:47], v[42:43]
	v_add_f64 v[64:65], v[64:65], v[22:23]
	;; [unrolled: 1-line block ×35, first 2 shown]
	ds_store_b128 v169, v[12:15] offset:4576
	ds_store_b128 v169, v[20:23] offset:6864
	;; [unrolled: 1-line block ×9, first 2 shown]
	ds_store_b128 v169, v[44:47]
	ds_store_b128 v169, v[4:7] offset:2288
	s_waitcnt lgkmcnt(0)
	s_barrier
	buffer_gl0_inv
	s_and_b32 exec_lo, exec_lo, vcc_lo
	s_cbranch_execz .LBB0_15
; %bb.14:
	v_add_co_u32 v36, s0, s14, v169
	s_delay_alu instid0(VALU_DEP_1)
	v_add_co_ci_u32_e64 v37, null, s15, 0, s0
	s_clause 0x2
	global_load_b128 v[0:3], v169, s[14:15]
	global_load_b128 v[4:7], v169, s[14:15] offset:1936
	global_load_b128 v[8:11], v169, s[14:15] offset:3872
	v_add_co_u32 v16, vcc_lo, 0x1000, v36
	v_add_co_ci_u32_e32 v17, vcc_lo, 0, v37, vcc_lo
	v_add_co_u32 v24, vcc_lo, 0x2000, v36
	v_add_co_ci_u32_e32 v25, vcc_lo, 0, v37, vcc_lo
	;; [unrolled: 2-line block ×4, first 2 shown]
	v_add_co_u32 v100, vcc_lo, 0x5000, v36
	s_clause 0x5
	global_load_b128 v[12:15], v[16:17], off offset:1712
	global_load_b128 v[16:19], v[16:17], off offset:3648
	global_load_b128 v[20:23], v[24:25], off offset:1488
	global_load_b128 v[24:27], v[24:25], off offset:3424
	global_load_b128 v[28:31], v[32:33], off offset:1264
	global_load_b128 v[32:35], v[32:33], off offset:3200
	v_add_co_ci_u32_e32 v101, vcc_lo, 0, v37, vcc_lo
	s_clause 0x2
	global_load_b128 v[36:39], v[40:41], off offset:1040
	global_load_b128 v[40:43], v[40:41], off offset:2976
	;; [unrolled: 1-line block ×3, first 2 shown]
	v_mad_u64_u32 v[88:89], null, s6, v132, 0
	v_mad_u64_u32 v[102:103], null, s4, v255, 0
	ds_load_b128 v[48:51], v169
	ds_load_b128 v[52:55], v169 offset:1936
	s_mul_i32 s0, s5, 0x790
	s_mul_hi_u32 s1, s4, 0x790
	s_mul_i32 s2, s4, 0x790
	v_mov_b32_e32 v56, v89
	s_add_i32 s3, s1, s0
	v_mov_b32_e32 v64, v103
	s_mov_b32 s0, 0x49b95e3b
	s_mov_b32 s1, 0x3f44d4df
	v_mad_u64_u32 v[72:73], null, s7, v132, v[56:57]
	ds_load_b128 v[56:59], v169 offset:3872
	ds_load_b128 v[60:63], v169 offset:5808
	v_mad_u64_u32 v[90:91], null, s5, v255, v[64:65]
	ds_load_b128 v[64:67], v169 offset:7744
	ds_load_b128 v[68:71], v169 offset:9680
	v_mov_b32_e32 v89, v72
	ds_load_b128 v[72:75], v169 offset:11616
	ds_load_b128 v[76:79], v169 offset:13552
	;; [unrolled: 1-line block ×4, first 2 shown]
	v_mov_b32_e32 v103, v90
	v_lshlrev_b64 v[104:105], 4, v[88:89]
	ds_load_b128 v[88:91], v169 offset:19360
	ds_load_b128 v[92:95], v169 offset:21296
	;; [unrolled: 1-line block ×3, first 2 shown]
	v_lshlrev_b64 v[102:103], 4, v[102:103]
	v_add_co_u32 v128, vcc_lo, s12, v104
	v_add_co_ci_u32_e32 v129, vcc_lo, s13, v105, vcc_lo
	s_delay_alu instid0(VALU_DEP_2) | instskip(NEXT) | instid1(VALU_DEP_2)
	v_add_co_u32 v102, vcc_lo, v128, v102
	v_add_co_ci_u32_e32 v103, vcc_lo, v129, v103, vcc_lo
	s_delay_alu instid0(VALU_DEP_2) | instskip(NEXT) | instid1(VALU_DEP_2)
	;; [unrolled: 3-line block ×3, first 2 shown]
	v_add_co_u32 v130, vcc_lo, v128, s2
	v_add_co_ci_u32_e32 v131, vcc_lo, s3, v129, vcc_lo
	s_waitcnt vmcnt(11) lgkmcnt(12)
	v_mul_f64 v[104:105], v[50:51], v[2:3]
	v_mul_f64 v[2:3], v[48:49], v[2:3]
	s_waitcnt vmcnt(10) lgkmcnt(11)
	v_mul_f64 v[106:107], v[54:55], v[6:7]
	v_mul_f64 v[6:7], v[52:53], v[6:7]
	;; [unrolled: 3-line block ×12, first 2 shown]
	v_fma_f64 v[48:49], v[48:49], v[0:1], v[104:105]
	v_fma_f64 v[2:3], v[0:1], v[50:51], -v[2:3]
	v_fma_f64 v[50:51], v[52:53], v[4:5], v[106:107]
	v_fma_f64 v[6:7], v[4:5], v[54:55], -v[6:7]
	;; [unrolled: 2-line block ×12, first 2 shown]
	v_add_co_u32 v72, vcc_lo, v130, s2
	v_add_co_ci_u32_e32 v73, vcc_lo, s3, v131, vcc_lo
	v_mul_f64 v[0:1], v[48:49], s[0:1]
	v_mul_f64 v[2:3], v[2:3], s[0:1]
	s_delay_alu instid0(VALU_DEP_4)
	v_add_co_u32 v74, vcc_lo, v72, s2
	v_mul_f64 v[4:5], v[50:51], s[0:1]
	v_mul_f64 v[6:7], v[6:7], s[0:1]
	v_mul_f64 v[8:9], v[52:53], s[0:1]
	v_mul_f64 v[10:11], v[10:11], s[0:1]
	v_add_co_ci_u32_e32 v75, vcc_lo, s3, v73, vcc_lo
	v_add_co_u32 v76, vcc_lo, v74, s2
	s_delay_alu instid0(VALU_DEP_2) | instskip(NEXT) | instid1(VALU_DEP_2)
	v_add_co_ci_u32_e32 v77, vcc_lo, s3, v75, vcc_lo
	v_add_co_u32 v48, vcc_lo, v76, s2
	v_mul_f64 v[12:13], v[54:55], s[0:1]
	v_mul_f64 v[14:15], v[14:15], s[0:1]
	;; [unrolled: 1-line block ×18, first 2 shown]
	v_add_co_ci_u32_e32 v49, vcc_lo, s3, v77, vcc_lo
	v_add_co_u32 v50, vcc_lo, v48, s2
	s_delay_alu instid0(VALU_DEP_2) | instskip(NEXT) | instid1(VALU_DEP_2)
	v_add_co_ci_u32_e32 v51, vcc_lo, s3, v49, vcc_lo
	v_add_co_u32 v52, vcc_lo, v50, s2
	s_delay_alu instid0(VALU_DEP_2) | instskip(NEXT) | instid1(VALU_DEP_2)
	;; [unrolled: 3-line block ×4, first 2 shown]
	v_add_co_ci_u32_e32 v57, vcc_lo, s3, v55, vcc_lo
	v_add_co_u32 v58, vcc_lo, v56, s2
	s_delay_alu instid0(VALU_DEP_2)
	v_add_co_ci_u32_e32 v59, vcc_lo, s3, v57, vcc_lo
	s_clause 0x4
	global_store_b128 v[102:103], v[0:3], off
	global_store_b128 v[128:129], v[4:7], off
	;; [unrolled: 1-line block ×12, first 2 shown]
	global_load_b128 v[0:3], v[100:101], off offset:2752
	s_waitcnt vmcnt(0) lgkmcnt(0)
	v_mul_f64 v[4:5], v[98:99], v[2:3]
	v_mul_f64 v[2:3], v[96:97], v[2:3]
	s_delay_alu instid0(VALU_DEP_2) | instskip(NEXT) | instid1(VALU_DEP_2)
	v_fma_f64 v[4:5], v[96:97], v[0:1], v[4:5]
	v_fma_f64 v[2:3], v[0:1], v[98:99], -v[2:3]
	s_delay_alu instid0(VALU_DEP_2) | instskip(NEXT) | instid1(VALU_DEP_2)
	v_mul_f64 v[0:1], v[4:5], s[0:1]
	v_mul_f64 v[2:3], v[2:3], s[0:1]
	v_add_co_u32 v4, vcc_lo, v58, s2
	v_add_co_ci_u32_e32 v5, vcc_lo, s3, v59, vcc_lo
	global_store_b128 v[4:5], v[0:3], off
.LBB0_15:
	s_nop 0
	s_sendmsg sendmsg(MSG_DEALLOC_VGPRS)
	s_endpgm
	.section	.rodata,"a",@progbits
	.p2align	6, 0x0
	.amdhsa_kernel bluestein_single_fwd_len1573_dim1_dp_op_CI_CI
		.amdhsa_group_segment_fixed_size 25168
		.amdhsa_private_segment_fixed_size 68
		.amdhsa_kernarg_size 104
		.amdhsa_user_sgpr_count 15
		.amdhsa_user_sgpr_dispatch_ptr 0
		.amdhsa_user_sgpr_queue_ptr 0
		.amdhsa_user_sgpr_kernarg_segment_ptr 1
		.amdhsa_user_sgpr_dispatch_id 0
		.amdhsa_user_sgpr_private_segment_size 0
		.amdhsa_wavefront_size32 1
		.amdhsa_uses_dynamic_stack 0
		.amdhsa_enable_private_segment 1
		.amdhsa_system_sgpr_workgroup_id_x 1
		.amdhsa_system_sgpr_workgroup_id_y 0
		.amdhsa_system_sgpr_workgroup_id_z 0
		.amdhsa_system_sgpr_workgroup_info 0
		.amdhsa_system_vgpr_workitem_id 0
		.amdhsa_next_free_vgpr 256
		.amdhsa_next_free_sgpr 46
		.amdhsa_reserve_vcc 1
		.amdhsa_float_round_mode_32 0
		.amdhsa_float_round_mode_16_64 0
		.amdhsa_float_denorm_mode_32 3
		.amdhsa_float_denorm_mode_16_64 3
		.amdhsa_dx10_clamp 1
		.amdhsa_ieee_mode 1
		.amdhsa_fp16_overflow 0
		.amdhsa_workgroup_processor_mode 1
		.amdhsa_memory_ordered 1
		.amdhsa_forward_progress 0
		.amdhsa_shared_vgpr_count 0
		.amdhsa_exception_fp_ieee_invalid_op 0
		.amdhsa_exception_fp_denorm_src 0
		.amdhsa_exception_fp_ieee_div_zero 0
		.amdhsa_exception_fp_ieee_overflow 0
		.amdhsa_exception_fp_ieee_underflow 0
		.amdhsa_exception_fp_ieee_inexact 0
		.amdhsa_exception_int_div_zero 0
	.end_amdhsa_kernel
	.text
.Lfunc_end0:
	.size	bluestein_single_fwd_len1573_dim1_dp_op_CI_CI, .Lfunc_end0-bluestein_single_fwd_len1573_dim1_dp_op_CI_CI
                                        ; -- End function
	.section	.AMDGPU.csdata,"",@progbits
; Kernel info:
; codeLenInByte = 24916
; NumSgprs: 48
; NumVgprs: 256
; ScratchSize: 68
; MemoryBound: 0
; FloatMode: 240
; IeeeMode: 1
; LDSByteSize: 25168 bytes/workgroup (compile time only)
; SGPRBlocks: 5
; VGPRBlocks: 31
; NumSGPRsForWavesPerEU: 48
; NumVGPRsForWavesPerEU: 256
; Occupancy: 5
; WaveLimiterHint : 1
; COMPUTE_PGM_RSRC2:SCRATCH_EN: 1
; COMPUTE_PGM_RSRC2:USER_SGPR: 15
; COMPUTE_PGM_RSRC2:TRAP_HANDLER: 0
; COMPUTE_PGM_RSRC2:TGID_X_EN: 1
; COMPUTE_PGM_RSRC2:TGID_Y_EN: 0
; COMPUTE_PGM_RSRC2:TGID_Z_EN: 0
; COMPUTE_PGM_RSRC2:TIDIG_COMP_CNT: 0
	.text
	.p2alignl 7, 3214868480
	.fill 96, 4, 3214868480
	.type	__hip_cuid_993be8e1517e5494,@object ; @__hip_cuid_993be8e1517e5494
	.section	.bss,"aw",@nobits
	.globl	__hip_cuid_993be8e1517e5494
__hip_cuid_993be8e1517e5494:
	.byte	0                               ; 0x0
	.size	__hip_cuid_993be8e1517e5494, 1

	.ident	"AMD clang version 19.0.0git (https://github.com/RadeonOpenCompute/llvm-project roc-6.4.0 25133 c7fe45cf4b819c5991fe208aaa96edf142730f1d)"
	.section	".note.GNU-stack","",@progbits
	.addrsig
	.addrsig_sym __hip_cuid_993be8e1517e5494
	.amdgpu_metadata
---
amdhsa.kernels:
  - .args:
      - .actual_access:  read_only
        .address_space:  global
        .offset:         0
        .size:           8
        .value_kind:     global_buffer
      - .actual_access:  read_only
        .address_space:  global
        .offset:         8
        .size:           8
        .value_kind:     global_buffer
      - .actual_access:  read_only
        .address_space:  global
        .offset:         16
        .size:           8
        .value_kind:     global_buffer
      - .actual_access:  read_only
        .address_space:  global
        .offset:         24
        .size:           8
        .value_kind:     global_buffer
      - .actual_access:  read_only
        .address_space:  global
        .offset:         32
        .size:           8
        .value_kind:     global_buffer
      - .offset:         40
        .size:           8
        .value_kind:     by_value
      - .address_space:  global
        .offset:         48
        .size:           8
        .value_kind:     global_buffer
      - .address_space:  global
        .offset:         56
        .size:           8
        .value_kind:     global_buffer
      - .address_space:  global
        .offset:         64
        .size:           8
        .value_kind:     global_buffer
      - .address_space:  global
        .offset:         72
        .size:           8
        .value_kind:     global_buffer
      - .offset:         80
        .size:           4
        .value_kind:     by_value
      - .address_space:  global
        .offset:         88
        .size:           8
        .value_kind:     global_buffer
      - .address_space:  global
        .offset:         96
        .size:           8
        .value_kind:     global_buffer
    .group_segment_fixed_size: 25168
    .kernarg_segment_align: 8
    .kernarg_segment_size: 104
    .language:       OpenCL C
    .language_version:
      - 2
      - 0
    .max_flat_workgroup_size: 143
    .name:           bluestein_single_fwd_len1573_dim1_dp_op_CI_CI
    .private_segment_fixed_size: 68
    .sgpr_count:     48
    .sgpr_spill_count: 0
    .symbol:         bluestein_single_fwd_len1573_dim1_dp_op_CI_CI.kd
    .uniform_work_group_size: 1
    .uses_dynamic_stack: false
    .vgpr_count:     256
    .vgpr_spill_count: 24
    .wavefront_size: 32
    .workgroup_processor_mode: 1
amdhsa.target:   amdgcn-amd-amdhsa--gfx1100
amdhsa.version:
  - 1
  - 2
...

	.end_amdgpu_metadata
